;; amdgpu-corpus repo=LLNL/RAJAPerf kind=compiled arch=gfx90a opt=O3
	.text
	.amdgcn_target "amdgcn-amd-amdhsa--gfx90a"
	.amdhsa_code_object_version 6
	.section	.text._ZN8rajaperf4apps17intsc_hexrect_hipILm64EEEvPdS2_S2_PiPcS3_S3_lS2_,"axG",@progbits,_ZN8rajaperf4apps17intsc_hexrect_hipILm64EEEvPdS2_S2_PiPcS3_S3_lS2_,comdat
	.protected	_ZN8rajaperf4apps17intsc_hexrect_hipILm64EEEvPdS2_S2_PiPcS3_S3_lS2_ ; -- Begin function _ZN8rajaperf4apps17intsc_hexrect_hipILm64EEEvPdS2_S2_PiPcS3_S3_lS2_
	.globl	_ZN8rajaperf4apps17intsc_hexrect_hipILm64EEEvPdS2_S2_PiPcS3_S3_lS2_
	.p2align	8
	.type	_ZN8rajaperf4apps17intsc_hexrect_hipILm64EEEvPdS2_S2_PiPcS3_S3_lS2_,@function
_ZN8rajaperf4apps17intsc_hexrect_hipILm64EEEvPdS2_S2_PiPcS3_S3_lS2_: ; @_ZN8rajaperf4apps17intsc_hexrect_hipILm64EEEvPdS2_S2_PiPcS3_S3_lS2_
; %bb.0:
	s_load_dwordx16 s[12:27], s[4:5], 0x0
	s_add_u32 s0, s0, s9
	s_mov_b32 s9, 0
	s_addc_u32 s1, s1, 0
	s_lshl_b64 s[6:7], s[8:9], 6
	v_or_b32_e32 v32, s6, v0
	v_mov_b32_e32 v33, s7
	s_waitcnt lgkmcnt(0)
	v_cmp_gt_i64_e32 vcc, s[26:27], v[32:33]
	s_and_saveexec_b64 s[6:7], vcc
	s_cbranch_execz .LBB0_614
; %bb.1:
	v_lshlrev_b64 v[10:11], 2, v[32:33]
	v_mov_b32_e32 v1, s23
	v_add_co_u32_e32 v2, vcc, s22, v10
	v_addc_co_u32_e32 v3, vcc, v1, v11, vcc
	global_load_dword v1, v[2:3], off
	v_mov_b32_e32 v4, s19
	v_mov_b32_e32 v21, s15
	;; [unrolled: 1-line block ×21, first 2 shown]
	s_waitcnt vmcnt(0)
	v_lshlrev_b32_e32 v2, 3, v1
	v_ashrrev_i32_e32 v3, 31, v2
	v_lshlrev_b64 v[2:3], 2, v[2:3]
	v_add_co_u32_e32 v12, vcc, s18, v2
	v_addc_co_u32_e32 v13, vcc, v4, v3, vcc
	global_load_dwordx4 v[6:9], v[12:13], off
	global_load_dwordx4 v[2:5], v[12:13], off offset:16
	v_mov_b32_e32 v12, s25
	v_add_co_u32_e32 v10, vcc, s24, v10
	v_addc_co_u32_e32 v11, vcc, v12, v11, vcc
	global_load_dword v78, v[10:11], off
	v_mov_b32_e32 v1, s13
	s_waitcnt vmcnt(2)
	v_ashrrev_i32_e32 v11, 31, v6
	v_mov_b32_e32 v10, v6
	v_lshlrev_b64 v[10:11], 3, v[10:11]
	v_add_co_u32_e32 v18, vcc, s12, v10
	v_addc_co_u32_e32 v19, vcc, v1, v11, vcc
	v_add_co_u32_e32 v20, vcc, s14, v10
	v_addc_co_u32_e32 v21, vcc, v21, v11, vcc
	v_ashrrev_i32_e32 v13, 31, v7
	v_mov_b32_e32 v12, v7
	v_add_co_u32_e32 v10, vcc, s16, v10
	v_lshlrev_b64 v[12:13], 3, v[12:13]
	v_addc_co_u32_e32 v11, vcc, v22, v11, vcc
	v_add_co_u32_e32 v36, vcc, s12, v12
	v_addc_co_u32_e32 v37, vcc, v23, v13, vcc
	v_add_co_u32_e32 v42, vcc, s14, v12
	v_addc_co_u32_e32 v43, vcc, v24, v13, vcc
	v_ashrrev_i32_e32 v7, 31, v8
	v_mov_b32_e32 v6, v8
	v_add_co_u32_e32 v12, vcc, s16, v12
	v_lshlrev_b64 v[6:7], 3, v[6:7]
	v_addc_co_u32_e32 v13, vcc, v25, v13, vcc
	;; [unrolled: 9-line block ×3, first 2 shown]
	v_add_co_u32_e32 v50, vcc, s12, v14
	v_addc_co_u32_e32 v51, vcc, v29, v15, vcc
	v_add_co_u32_e32 v52, vcc, s14, v14
	v_addc_co_u32_e32 v53, vcc, v30, v15, vcc
	s_waitcnt vmcnt(1)
	v_ashrrev_i32_e32 v9, 31, v2
	v_mov_b32_e32 v8, v2
	v_add_co_u32_e32 v14, vcc, s16, v14
	v_lshlrev_b64 v[8:9], 3, v[8:9]
	v_addc_co_u32_e32 v15, vcc, v31, v15, vcc
	v_add_co_u32_e32 v64, vcc, s12, v8
	v_addc_co_u32_e32 v65, vcc, v34, v9, vcc
	v_add_co_u32_e32 v66, vcc, s14, v8
	v_addc_co_u32_e32 v67, vcc, v35, v9, vcc
	v_ashrrev_i32_e32 v17, 31, v3
	v_mov_b32_e32 v16, v3
	v_add_co_u32_e32 v8, vcc, s16, v8
	v_lshlrev_b64 v[16:17], 3, v[16:17]
	v_addc_co_u32_e32 v9, vcc, v38, v9, vcc
	v_add_co_u32_e32 v68, vcc, s12, v16
	v_addc_co_u32_e32 v69, vcc, v39, v17, vcc
	v_add_co_u32_e32 v70, vcc, s14, v16
	v_addc_co_u32_e32 v71, vcc, v40, v17, vcc
	;; [unrolled: 9-line block ×3, first 2 shown]
	v_add_co_u32_e32 v2, vcc, s16, v2
	v_addc_co_u32_e32 v3, vcc, v54, v3, vcc
	global_load_dwordx2 v[56:57], v[18:19], off
	global_load_dwordx2 v[38:39], v[20:21], off
	;; [unrolled: 1-line block ×15, first 2 shown]
                                        ; kill: killed $vgpr12 killed $vgpr13
                                        ; kill: killed $vgpr48 killed $vgpr49
                                        ; kill: killed $vgpr50 killed $vgpr51
                                        ; kill: killed $vgpr8 killed $vgpr9
                                        ; kill: killed $vgpr10 killed $vgpr11
                                        ; kill: killed $vgpr42 killed $vgpr43
                                        ; kill: killed $vgpr44 killed $vgpr45
                                        ; kill: killed $vgpr14 killed $vgpr15
                                        ; kill: killed $vgpr66 killed $vgpr67
                                        ; kill: killed $vgpr20 killed $vgpr21
                                        ; kill: killed $vgpr36 killed $vgpr37
                                        ; kill: killed $vgpr6 killed $vgpr7
                                        ; kill: killed $vgpr52 killed $vgpr53
                                        ; kill: killed $vgpr64 killed $vgpr65
                                        ; kill: killed $vgpr18 killed $vgpr19
	global_load_dwordx2 v[44:45], v[68:69], off
	global_load_dwordx2 v[42:43], v[70:71], off
	global_load_dwordx2 v[36:37], v[72:73], off
	global_load_dwordx2 v[20:21], v[74:75], off
	global_load_dwordx2 v[18:19], v[76:77], off
	global_load_dwordx2 v[14:15], v[2:3], off
	s_load_dwordx2 s[6:7], s[20:21], 0x4
	s_load_dwordx4 s[8:11], s[20:21], 0x10
	v_ashrrev_i32_e32 v3, 31, v5
	v_mov_b32_e32 v2, v5
	v_lshlrev_b64 v[2:3], 3, v[2:3]
	v_add_co_u32_e32 v4, vcc, s12, v2
	v_addc_co_u32_e32 v5, vcc, v1, v3, vcc
	v_mov_b32_e32 v1, s15
	s_waitcnt lgkmcnt(0)
	s_mul_i32 s15, s7, s6
	s_abs_i32 s18, s15
	v_cvt_f32_u32_e32 v6, s18
	global_load_dwordx2 v[48:49], v[4:5], off
	v_add_co_u32_e32 v4, vcc, s14, v2
	v_addc_co_u32_e32 v5, vcc, v1, v3, vcc
	global_load_dwordx2 v[50:51], v[4:5], off
	v_rcp_iflag_f32_e32 v4, v6
	v_mov_b32_e32 v1, s17
	v_add_co_u32_e32 v2, vcc, s16, v2
	v_addc_co_u32_e32 v3, vcc, v1, v3, vcc
	v_mul_f32_e32 v1, 0x4f7ffffe, v4
	v_cvt_u32_f32_e32 v1, v1
	s_sub_i32 s14, 0, s18
	global_load_dwordx2 v[52:53], v[2:3], off
	s_waitcnt vmcnt(24)
	v_xor_b32_e32 v2, s15, v78
	v_mul_lo_u32 v3, s14, v1
	v_mul_hi_u32 v3, v1, v3
	v_add_u32_e32 v1, v1, v3
	v_sub_u32_e32 v3, 0, v78
	v_max_i32_e32 v3, v78, v3
	v_mul_hi_u32 v1, v3, v1
	v_mul_lo_u32 v4, v1, s18
	v_sub_u32_e32 v4, v3, v4
	v_add_u32_e32 v5, 1, v1
	v_cmp_le_u32_e32 vcc, s18, v4
	s_abs_i32 s14, s7
	v_cndmask_b32_e32 v1, v1, v5, vcc
	v_cvt_f32_u32_e32 v5, s14
	v_subrev_u32_e32 v6, s18, v4
	v_cndmask_b32_e32 v4, v4, v6, vcc
	v_add_u32_e32 v6, 1, v1
	v_rcp_iflag_f32_e32 v5, v5
	v_cmp_le_u32_e32 vcc, s18, v4
	v_ashrrev_i32_e32 v2, 31, v2
	v_cndmask_b32_e32 v1, v1, v6, vcc
	v_xor_b32_e32 v1, v1, v2
	v_sub_u32_e32 v6, v1, v2
	v_mul_f32_e32 v1, 0x4f7ffffe, v5
	v_cvt_u32_f32_e32 v1, v1
	s_sub_i32 s15, 0, s14
	s_abs_i32 s6, s6
	v_xor_b32_e32 v2, s7, v78
	v_mul_lo_u32 v4, s15, v1
	v_mul_hi_u32 v4, v1, v4
	v_add_u32_e32 v1, v1, v4
	v_mul_hi_u32 v1, v3, v1
	v_mul_lo_u32 v4, v1, s14
	v_sub_u32_e32 v3, v3, v4
	v_add_u32_e32 v4, 1, v1
	v_cmp_le_u32_e32 vcc, s14, v3
	v_cndmask_b32_e32 v1, v1, v4, vcc
	v_subrev_u32_e32 v4, s14, v3
	v_cndmask_b32_e32 v3, v3, v4, vcc
	v_cvt_f32_u32_e32 v4, s6
	v_cmp_le_u32_e32 vcc, s14, v3
	v_add_u32_e32 v5, 1, v1
	v_ashrrev_i32_e32 v2, 31, v2
	v_rcp_iflag_f32_e32 v3, v4
	v_cndmask_b32_e32 v1, v1, v5, vcc
	v_xor_b32_e32 v1, v1, v2
	s_sub_i32 s14, 0, s6
	v_mul_f32_e32 v3, 0x4f7ffffe, v3
	v_cvt_u32_f32_e32 v3, v3
	v_sub_u32_e32 v1, v1, v2
	v_sub_u32_e32 v4, 0, v1
	v_max_i32_e32 v4, v1, v4
	v_mul_lo_u32 v5, s14, v3
	v_mul_hi_u32 v5, v3, v5
	v_add_u32_e32 v3, v3, v5
	v_mul_hi_u32 v3, v4, v3
	v_mul_lo_u32 v3, v3, s6
	v_sub_u32_e32 v3, v4, v3
	v_subrev_u32_e32 v4, s6, v3
	v_cmp_le_u32_e32 vcc, s6, v3
	v_cndmask_b32_e32 v3, v3, v4, vcc
	v_subrev_u32_e32 v4, s6, v3
	v_cmp_le_u32_e32 vcc, s6, v3
	s_load_dwordx2 s[12:13], s[20:21], 0x20
	v_ashrrev_i32_e32 v2, 31, v1
	v_cndmask_b32_e32 v3, v3, v4, vcc
	v_xor_b32_e32 v3, v3, v2
	v_mul_lo_u32 v1, v1, s7
	v_sub_u32_e32 v8, v3, v2
	v_sub_u32_e32 v2, v78, v1
	v_ashrrev_i32_e32 v3, 31, v2
	v_lshlrev_b64 v[2:3], 3, v[2:3]
	s_waitcnt lgkmcnt(0)
	v_mov_b32_e32 v1, s13
	v_add_co_u32_e32 v2, vcc, s12, v2
	v_ashrrev_i32_e32 v7, 31, v6
	v_addc_co_u32_e32 v3, vcc, v1, v3, vcc
	v_ashrrev_i32_e32 v9, 31, v8
	v_lshlrev_b64 v[6:7], 3, v[6:7]
	v_lshlrev_b64 v[10:11], 3, v[8:9]
	v_mov_b32_e32 v8, s9
	v_add_co_u32_e32 v6, vcc, s8, v6
	v_addc_co_u32_e32 v7, vcc, v8, v7, vcc
	v_mov_b32_e32 v1, s11
	v_add_co_u32_e32 v10, vcc, s10, v10
	v_addc_co_u32_e32 v11, vcc, v1, v11, vcc
	global_load_dwordx4 v[2:5], v[2:3], off
	v_mov_b32_e32 v1, 0
	global_load_dwordx4 v[10:13], v[10:11], off
	s_waitcnt vmcnt(0)
	v_add_f64 v[12:13], v[12:13], -v[10:11]
	global_load_dwordx4 v[6:9], v[6:7], off
	s_nop 0
	buffer_store_dword v57, off, s[0:3], 0 offset:244
	buffer_store_dword v56, off, s[0:3], 0 offset:240
	;; [unrolled: 1-line block ×15, first 2 shown]
	buffer_load_dword v66, off, s[0:3], 0 offset:240
	buffer_load_dword v67, off, s[0:3], 0 offset:244
	;; [unrolled: 1-line block ×15, first 2 shown]
	s_waitcnt vmcnt(30)
	v_cmp_gt_f64_e32 vcc, v[8:9], v[6:7]
	buffer_store_dword v41, off, s[0:3], 0 offset:388
	buffer_load_dword v73, off, s[0:3], 0 offset:388
	s_nop 0
	buffer_store_dword v46, off, s[0:3], 0 offset:400
	buffer_store_dword v47, off, s[0:3], 0 offset:404
	buffer_load_dword v41, off, s[0:3], 0 offset:404
	buffer_load_dword v40, off, s[0:3], 0 offset:400
	s_nop 0
	buffer_store_dword v31, off, s[0:3], 0 offset:252
	buffer_store_dword v30, off, s[0:3], 0 offset:248
	;; [unrolled: 1-line block ×30, first 2 shown]
	v_add_f64 v[16:17], v[4:5], -v[2:3]
	v_mul_f64 v[4:5], v[16:17], v[12:13]
	v_mov_b32_e32 v24, 0x174d6123
	v_mov_b32_e32 v25, 0x2f52f8ac
	v_fmac_f64_e32 v[24:25], v[4:5], v[4:5]
	v_div_scale_f64 v[26:27], s[6:7], v[24:25], v[24:25], v[4:5]
	v_rcp_f64_e32 v[30:31], v[26:27]
	v_add_f64 v[22:23], v[8:9], -v[6:7]
	v_cndmask_b32_e32 v37, 0, v23, vcc
	v_cndmask_b32_e32 v36, 0, v22, vcc
	v_fma_f64 v[8:9], -v[26:27], v[30:31], 1.0
	v_fmac_f64_e32 v[30:31], v[30:31], v[8:9]
	v_fma_f64 v[8:9], -v[26:27], v[30:31], 1.0
	v_fmac_f64_e32 v[30:31], v[30:31], v[8:9]
	v_div_scale_f64 v[8:9], vcc, v[4:5], v[24:25], v[4:5]
	v_mul_f64 v[22:23], v[8:9], v[30:31]
	v_fma_f64 v[8:9], -v[26:27], v[22:23], v[8:9]
	s_mov_b32 s6, 0
	s_nop 0
	v_div_fmas_f64 v[8:9], v[8:9], v[30:31], v[22:23]
	s_waitcnt vmcnt(47)
	v_add_f64 v[22:23], v[66:67], v[64:65]
	v_add_f64 v[22:23], v[22:23], v[20:21]
	v_div_fixup_f64 v[8:9], v[8:9], v[24:25], v[4:5]
	s_waitcnt vmcnt(45)
	v_add_f64 v[22:23], v[22:23], v[28:29]
	s_mov_b32 s7, 0x3fd00000
	v_mul_f64 v[34:35], v[12:13], v[8:9]
	v_fma_f64 v[22:23], v[22:23], s[6:7], -v[2:3]
	v_mul_f64 v[62:63], v[34:35], v[22:23]
	s_waitcnt vmcnt(37)
	v_add_f64 v[22:23], v[68:69], v[76:77]
	v_add_f64 v[22:23], v[22:23], v[18:19]
	;; [unrolled: 1-line block ×3, first 2 shown]
	v_mul_f64 v[8:9], v[16:17], v[8:9]
	v_fma_f64 v[22:23], v[22:23], s[6:7], -v[10:11]
	v_mul_f64 v[60:61], v[8:9], v[22:23]
	v_cmp_gt_f64_e64 s[12:13], 0, v[62:63]
	s_waitcnt vmcnt(36)
	v_add_f64 v[46:47], v[74:75], -v[6:7]
	buffer_store_dword v1, off, s[0:3], 0 offset:8
	buffer_store_dword v1, off, s[0:3], 0 offset:4
	buffer_store_dword v1, off, s[0:3], 0
	s_waitcnt vmcnt(37)
	v_add_f64 v[22:23], v[74:75], v[72:73]
	v_add_f64 v[22:23], v[22:23], v[14:15]
	s_waitcnt vmcnt(33)
	v_add_f64 v[22:23], v[22:23], v[40:41]
	v_fma_f64 v[58:59], v[22:23], s[6:7], -v[6:7]
	v_add_f64 v[22:23], v[66:67], -v[2:3]
	v_mul_f64 v[54:55], v[34:35], v[22:23]
	v_add_f64 v[22:23], v[64:65], -v[2:3]
	v_mul_f64 v[56:57], v[34:35], v[22:23]
	v_cmp_gt_f64_e64 s[8:9], 0, v[54:55]
	v_add_f64 v[22:23], v[68:69], -v[10:11]
	s_and_b64 s[6:7], s[8:9], s[12:13]
	v_cmp_gt_f64_e64 s[10:11], 0, v[56:57]
	v_mul_f64 v[50:51], v[8:9], v[22:23]
	v_add_f64 v[22:23], v[76:77], -v[10:11]
	s_and_b64 s[6:7], s[6:7], s[10:11]
	v_mul_f64 v[52:53], v[8:9], v[22:23]
	v_add_f64 v[48:49], v[72:73], -v[6:7]
	s_xor_b64 s[6:7], s[6:7], -1
	s_and_saveexec_b64 s[14:15], s[6:7]
	s_cbranch_execz .LBB0_11
; %bb.2:
	v_cmp_nle_f64_e32 vcc, 1.0, v[54:55]
	v_cmp_nle_f64_e64 s[6:7], 1.0, v[62:63]
	s_or_b64 s[6:7], vcc, s[6:7]
	v_cmp_nle_f64_e32 vcc, 1.0, v[56:57]
	s_or_b64 s[6:7], s[6:7], vcc
	s_and_b64 exec, exec, s[6:7]
	s_cbranch_execz .LBB0_11
; %bb.3:
	v_cmp_ngt_f64_e32 vcc, 0, v[50:51]
	v_cmp_ngt_f64_e64 s[6:7], 0, v[60:61]
	s_or_b64 s[6:7], vcc, s[6:7]
	v_cmp_ngt_f64_e32 vcc, 0, v[52:53]
	s_or_b64 s[6:7], s[6:7], vcc
	s_and_b64 exec, exec, s[6:7]
	s_cbranch_execz .LBB0_11
; %bb.4:
	v_cmp_nle_f64_e32 vcc, 1.0, v[50:51]
	v_cmp_nle_f64_e64 s[6:7], 1.0, v[60:61]
	s_or_b64 s[6:7], vcc, s[6:7]
	v_cmp_nle_f64_e32 vcc, 1.0, v[52:53]
	s_or_b64 s[6:7], s[6:7], vcc
	s_and_b64 exec, exec, s[6:7]
	s_cbranch_execz .LBB0_11
; %bb.5:
	v_cmp_ngt_f64_e32 vcc, 0, v[46:47]
	v_cmp_ngt_f64_e64 s[6:7], 0, v[58:59]
	s_or_b64 s[6:7], vcc, s[6:7]
	v_cmp_ngt_f64_e32 vcc, 0, v[48:49]
	s_or_b64 s[6:7], s[6:7], vcc
	s_and_b64 exec, exec, s[6:7]
	s_cbranch_execz .LBB0_11
; %bb.6:
	v_cmp_le_f64_e32 vcc, 0, v[54:55]
	v_cmp_le_f64_e64 s[6:7], 0, v[62:63]
	s_and_b64 s[6:7], vcc, s[6:7]
	v_cmp_le_f64_e32 vcc, 0, v[56:57]
	s_and_b64 s[6:7], s[6:7], vcc
	v_cmp_gt_f64_e32 vcc, 1.0, v[54:55]
	s_and_b64 s[6:7], vcc, s[6:7]
	v_cmp_gt_f64_e32 vcc, 1.0, v[62:63]
	s_and_b64 s[6:7], s[6:7], vcc
	v_cmp_gt_f64_e32 vcc, 1.0, v[56:57]
	s_and_b64 s[6:7], s[6:7], vcc
	v_cmp_le_f64_e32 vcc, 0, v[50:51]
	s_and_b64 s[6:7], vcc, s[6:7]
	v_cmp_le_f64_e32 vcc, 0, v[60:61]
	s_and_b64 s[6:7], s[6:7], vcc
	v_cmp_le_f64_e32 vcc, 0, v[52:53]
	s_and_b64 s[6:7], s[6:7], vcc
	v_cmp_gt_f64_e32 vcc, 1.0, v[50:51]
	s_and_b64 s[6:7], vcc, s[6:7]
	v_cmp_gt_f64_e32 vcc, 1.0, v[60:61]
	s_and_b64 s[6:7], s[6:7], vcc
	v_cmp_gt_f64_e32 vcc, 1.0, v[52:53]
	s_and_b64 s[6:7], s[6:7], vcc
	v_mov_b32_e32 v1, 8
	s_and_saveexec_b64 s[16:17], s[6:7]
	s_cbranch_execz .LBB0_10
; %bb.7:
	v_cmp_nge_f64_e32 vcc, v[46:47], v[36:37]
	v_cmp_nge_f64_e64 s[6:7], v[58:59], v[36:37]
	s_or_b64 s[6:7], vcc, s[6:7]
	v_cmp_nge_f64_e32 vcc, v[48:49], v[36:37]
	s_or_b64 s[6:7], s[6:7], vcc
	v_mov_b32_e32 v1, 4
	s_and_saveexec_b64 s[18:19], s[6:7]
	s_cbranch_execz .LBB0_9
; %bb.8:
	v_cmp_le_f64_e32 vcc, 0, v[46:47]
	v_cmp_le_f64_e64 s[6:7], 0, v[58:59]
	s_and_b64 s[6:7], vcc, s[6:7]
	v_cmp_le_f64_e32 vcc, 0, v[48:49]
	s_and_b64 s[6:7], s[6:7], vcc
	v_cmp_lt_f64_e32 vcc, v[46:47], v[36:37]
	s_and_b64 s[6:7], vcc, s[6:7]
	v_cmp_lt_f64_e32 vcc, v[58:59], v[36:37]
	s_and_b64 s[6:7], s[6:7], vcc
	v_cmp_lt_f64_e32 vcc, v[48:49], v[36:37]
	v_mov_b32_e32 v1, 0
	v_mov_b32_e32 v22, 8
	s_and_b64 vcc, s[6:7], vcc
	v_cndmask_b32_e32 v1, v22, v1, vcc
.LBB0_9:
	s_or_b64 exec, exec, s[18:19]
.LBB0_10:
	s_or_b64 exec, exec, s[16:17]
	buffer_load_dword v22, v1, s[0:3], 0 offen
	s_waitcnt vmcnt(0)
	v_or_b32_e32 v22, 1, v22
	buffer_store_dword v22, v1, s[0:3], 0 offen
.LBB0_11:
	s_or_b64 exec, exec, s[14:15]
	v_add_f64 v[22:23], v[20:21], -v[2:3]
	v_mul_f64 v[44:45], v[34:35], v[22:23]
	s_and_b64 s[14:15], s[10:11], s[12:13]
	v_cmp_gt_f64_e64 s[6:7], 0, v[44:45]
	v_add_f64 v[22:23], v[18:19], -v[10:11]
	s_and_b64 s[14:15], s[14:15], s[6:7]
	v_mul_f64 v[42:43], v[8:9], v[22:23]
	v_add_f64 v[30:31], v[14:15], -v[6:7]
	s_xor_b64 s[14:15], s[14:15], -1
	s_and_saveexec_b64 s[16:17], s[14:15]
	s_cbranch_execz .LBB0_21
; %bb.12:
	v_cmp_nle_f64_e32 vcc, 1.0, v[56:57]
	v_cmp_nle_f64_e64 s[14:15], 1.0, v[62:63]
	s_or_b64 s[14:15], vcc, s[14:15]
	v_cmp_nle_f64_e32 vcc, 1.0, v[44:45]
	s_or_b64 s[14:15], s[14:15], vcc
	s_and_b64 exec, exec, s[14:15]
	s_cbranch_execz .LBB0_21
; %bb.13:
	v_cmp_ngt_f64_e32 vcc, 0, v[52:53]
	v_cmp_ngt_f64_e64 s[14:15], 0, v[60:61]
	s_or_b64 s[14:15], vcc, s[14:15]
	v_cmp_ngt_f64_e32 vcc, 0, v[42:43]
	s_or_b64 s[14:15], s[14:15], vcc
	s_and_b64 exec, exec, s[14:15]
	s_cbranch_execz .LBB0_21
; %bb.14:
	v_cmp_nle_f64_e32 vcc, 1.0, v[52:53]
	v_cmp_nle_f64_e64 s[14:15], 1.0, v[60:61]
	s_or_b64 s[14:15], vcc, s[14:15]
	v_cmp_nle_f64_e32 vcc, 1.0, v[42:43]
	s_or_b64 s[14:15], s[14:15], vcc
	s_and_b64 exec, exec, s[14:15]
	s_cbranch_execz .LBB0_21
; %bb.15:
	v_cmp_ngt_f64_e32 vcc, 0, v[48:49]
	v_cmp_ngt_f64_e64 s[14:15], 0, v[58:59]
	s_or_b64 s[14:15], vcc, s[14:15]
	v_cmp_ngt_f64_e32 vcc, 0, v[30:31]
	s_or_b64 s[14:15], s[14:15], vcc
	s_and_b64 exec, exec, s[14:15]
	s_cbranch_execz .LBB0_21
; %bb.16:
	v_cmp_le_f64_e32 vcc, 0, v[56:57]
	v_cmp_le_f64_e64 s[14:15], 0, v[62:63]
	s_and_b64 s[14:15], vcc, s[14:15]
	v_cmp_le_f64_e32 vcc, 0, v[44:45]
	s_and_b64 s[14:15], s[14:15], vcc
	v_cmp_gt_f64_e32 vcc, 1.0, v[56:57]
	s_and_b64 s[14:15], vcc, s[14:15]
	v_cmp_gt_f64_e32 vcc, 1.0, v[62:63]
	s_and_b64 s[14:15], s[14:15], vcc
	v_cmp_gt_f64_e32 vcc, 1.0, v[44:45]
	s_and_b64 s[14:15], s[14:15], vcc
	v_cmp_le_f64_e32 vcc, 0, v[52:53]
	s_and_b64 s[14:15], vcc, s[14:15]
	v_cmp_le_f64_e32 vcc, 0, v[60:61]
	s_and_b64 s[14:15], s[14:15], vcc
	v_cmp_le_f64_e32 vcc, 0, v[42:43]
	s_and_b64 s[14:15], s[14:15], vcc
	v_cmp_gt_f64_e32 vcc, 1.0, v[52:53]
	s_and_b64 s[14:15], vcc, s[14:15]
	v_cmp_gt_f64_e32 vcc, 1.0, v[60:61]
	s_and_b64 s[14:15], s[14:15], vcc
	v_cmp_gt_f64_e32 vcc, 1.0, v[42:43]
	s_and_b64 s[14:15], s[14:15], vcc
	v_mov_b32_e32 v1, 8
	s_and_saveexec_b64 s[18:19], s[14:15]
	s_cbranch_execz .LBB0_20
; %bb.17:
	v_cmp_nge_f64_e32 vcc, v[48:49], v[36:37]
	v_cmp_nge_f64_e64 s[14:15], v[58:59], v[36:37]
	s_or_b64 s[14:15], vcc, s[14:15]
	v_cmp_nge_f64_e32 vcc, v[30:31], v[36:37]
	s_or_b64 s[14:15], s[14:15], vcc
	v_mov_b32_e32 v1, 4
	s_and_saveexec_b64 s[20:21], s[14:15]
	s_cbranch_execz .LBB0_19
; %bb.18:
	v_cmp_le_f64_e32 vcc, 0, v[48:49]
	v_cmp_le_f64_e64 s[14:15], 0, v[58:59]
	s_and_b64 s[14:15], vcc, s[14:15]
	v_cmp_le_f64_e32 vcc, 0, v[30:31]
	s_and_b64 s[14:15], s[14:15], vcc
	v_cmp_lt_f64_e32 vcc, v[48:49], v[36:37]
	s_and_b64 s[14:15], vcc, s[14:15]
	v_cmp_lt_f64_e32 vcc, v[58:59], v[36:37]
	s_and_b64 s[14:15], s[14:15], vcc
	v_cmp_lt_f64_e32 vcc, v[30:31], v[36:37]
	v_mov_b32_e32 v1, 0
	v_mov_b32_e32 v22, 8
	s_and_b64 vcc, s[14:15], vcc
	v_cndmask_b32_e32 v1, v22, v1, vcc
.LBB0_19:
	s_or_b64 exec, exec, s[20:21]
.LBB0_20:
	s_or_b64 exec, exec, s[18:19]
	buffer_load_dword v22, v1, s[0:3], 0 offen
	s_waitcnt vmcnt(0)
	v_or_b32_e32 v22, 2, v22
	buffer_store_dword v22, v1, s[0:3], 0 offen
.LBB0_21:
	s_or_b64 exec, exec, s[16:17]
	v_add_f64 v[22:23], v[28:29], -v[2:3]
	v_mul_f64 v[26:27], v[34:35], v[22:23]
	s_and_b64 s[14:15], s[6:7], s[12:13]
	v_cmp_gt_f64_e32 vcc, 0, v[26:27]
	v_add_f64 v[22:23], v[38:39], -v[10:11]
	s_and_b64 s[14:15], s[14:15], vcc
	v_mul_f64 v[24:25], v[8:9], v[22:23]
	v_add_f64 v[22:23], v[40:41], -v[6:7]
	s_xor_b64 s[14:15], s[14:15], -1
	s_and_saveexec_b64 s[18:19], s[14:15]
	s_cbranch_execz .LBB0_31
; %bb.22:
	v_cmp_nle_f64_e64 s[14:15], 1.0, v[44:45]
	v_cmp_nle_f64_e64 s[16:17], 1.0, v[62:63]
	s_or_b64 s[16:17], s[14:15], s[16:17]
	v_cmp_nle_f64_e64 s[14:15], 1.0, v[26:27]
	s_or_b64 s[14:15], s[16:17], s[14:15]
	s_and_b64 exec, exec, s[14:15]
	s_cbranch_execz .LBB0_31
; %bb.23:
	v_cmp_ngt_f64_e64 s[14:15], 0, v[42:43]
	v_cmp_ngt_f64_e64 s[16:17], 0, v[60:61]
	s_or_b64 s[16:17], s[14:15], s[16:17]
	v_cmp_ngt_f64_e64 s[14:15], 0, v[24:25]
	s_or_b64 s[14:15], s[16:17], s[14:15]
	s_and_b64 exec, exec, s[14:15]
	s_cbranch_execz .LBB0_31
; %bb.24:
	v_cmp_nle_f64_e64 s[14:15], 1.0, v[42:43]
	v_cmp_nle_f64_e64 s[16:17], 1.0, v[60:61]
	s_or_b64 s[16:17], s[14:15], s[16:17]
	v_cmp_nle_f64_e64 s[14:15], 1.0, v[24:25]
	s_or_b64 s[14:15], s[16:17], s[14:15]
	s_and_b64 exec, exec, s[14:15]
	s_cbranch_execz .LBB0_31
; %bb.25:
	v_cmp_ngt_f64_e64 s[14:15], 0, v[30:31]
	v_cmp_ngt_f64_e64 s[16:17], 0, v[58:59]
	s_or_b64 s[16:17], s[14:15], s[16:17]
	v_cmp_ngt_f64_e64 s[14:15], 0, v[22:23]
	s_or_b64 s[14:15], s[16:17], s[14:15]
	s_and_b64 exec, exec, s[14:15]
	s_cbranch_execz .LBB0_31
; %bb.26:
	v_cmp_le_f64_e64 s[14:15], 0, v[44:45]
	v_cmp_le_f64_e64 s[16:17], 0, v[62:63]
	s_and_b64 s[16:17], s[14:15], s[16:17]
	v_cmp_le_f64_e64 s[14:15], 0, v[26:27]
	s_and_b64 s[16:17], s[16:17], s[14:15]
	v_cmp_gt_f64_e64 s[14:15], 1.0, v[44:45]
	s_and_b64 s[16:17], s[14:15], s[16:17]
	v_cmp_gt_f64_e64 s[14:15], 1.0, v[62:63]
	;; [unrolled: 2-line block ×3, first 2 shown]
	s_and_b64 s[16:17], s[16:17], s[14:15]
	v_cmp_le_f64_e64 s[14:15], 0, v[42:43]
	s_and_b64 s[16:17], s[14:15], s[16:17]
	v_cmp_le_f64_e64 s[14:15], 0, v[60:61]
	;; [unrolled: 2-line block ×3, first 2 shown]
	s_and_b64 s[16:17], s[16:17], s[14:15]
	v_cmp_gt_f64_e64 s[14:15], 1.0, v[42:43]
	s_and_b64 s[16:17], s[14:15], s[16:17]
	v_cmp_gt_f64_e64 s[14:15], 1.0, v[60:61]
	;; [unrolled: 2-line block ×3, first 2 shown]
	s_and_b64 s[14:15], s[16:17], s[14:15]
	v_mov_b32_e32 v1, 8
	s_and_saveexec_b64 s[20:21], s[14:15]
	s_cbranch_execz .LBB0_30
; %bb.27:
	v_cmp_nge_f64_e64 s[14:15], v[30:31], v[36:37]
	v_cmp_nge_f64_e64 s[16:17], v[58:59], v[36:37]
	s_or_b64 s[16:17], s[14:15], s[16:17]
	v_cmp_nge_f64_e64 s[14:15], v[22:23], v[36:37]
	s_or_b64 s[14:15], s[16:17], s[14:15]
	v_mov_b32_e32 v1, 4
	s_and_saveexec_b64 s[22:23], s[14:15]
	s_cbranch_execz .LBB0_29
; %bb.28:
	v_cmp_le_f64_e64 s[14:15], 0, v[30:31]
	v_cmp_le_f64_e64 s[16:17], 0, v[58:59]
	s_and_b64 s[16:17], s[14:15], s[16:17]
	v_cmp_le_f64_e64 s[14:15], 0, v[22:23]
	s_and_b64 s[16:17], s[16:17], s[14:15]
	v_cmp_lt_f64_e64 s[14:15], v[30:31], v[36:37]
	s_and_b64 s[16:17], s[14:15], s[16:17]
	v_cmp_lt_f64_e64 s[14:15], v[58:59], v[36:37]
	;; [unrolled: 2-line block ×3, first 2 shown]
	v_mov_b32_e32 v1, 0
	v_mov_b32_e32 v70, 8
	s_and_b64 s[14:15], s[16:17], s[14:15]
	v_cndmask_b32_e64 v1, v70, v1, s[14:15]
.LBB0_29:
	s_or_b64 exec, exec, s[22:23]
.LBB0_30:
	s_or_b64 exec, exec, s[20:21]
	buffer_load_dword v70, v1, s[0:3], 0 offen
	s_waitcnt vmcnt(0)
	v_or_b32_e32 v70, 4, v70
	buffer_store_dword v70, v1, s[0:3], 0 offen
.LBB0_31:
	s_or_b64 exec, exec, s[18:19]
	s_and_b64 s[12:13], vcc, s[12:13]
	s_and_b64 s[12:13], s[8:9], s[12:13]
	s_xor_b64 s[12:13], s[12:13], -1
	s_and_saveexec_b64 s[16:17], s[12:13]
	s_cbranch_execz .LBB0_41
; %bb.32:
	v_cmp_nle_f64_e64 s[12:13], 1.0, v[26:27]
	v_cmp_nle_f64_e64 s[14:15], 1.0, v[62:63]
	s_or_b64 s[14:15], s[12:13], s[14:15]
	v_cmp_nle_f64_e64 s[12:13], 1.0, v[54:55]
	s_or_b64 s[12:13], s[12:13], s[14:15]
	s_and_b64 exec, exec, s[12:13]
	s_cbranch_execz .LBB0_41
; %bb.33:
	v_cmp_ngt_f64_e64 s[12:13], 0, v[24:25]
	v_cmp_ngt_f64_e64 s[14:15], 0, v[60:61]
	s_or_b64 s[14:15], s[12:13], s[14:15]
	v_cmp_ngt_f64_e64 s[12:13], 0, v[50:51]
	s_or_b64 s[12:13], s[14:15], s[12:13]
	s_and_b64 exec, exec, s[12:13]
	s_cbranch_execz .LBB0_41
; %bb.34:
	v_cmp_nle_f64_e64 s[12:13], 1.0, v[24:25]
	v_cmp_nle_f64_e64 s[14:15], 1.0, v[60:61]
	s_or_b64 s[14:15], s[12:13], s[14:15]
	v_cmp_nle_f64_e64 s[12:13], 1.0, v[50:51]
	s_or_b64 s[12:13], s[14:15], s[12:13]
	s_and_b64 exec, exec, s[12:13]
	s_cbranch_execz .LBB0_41
; %bb.35:
	v_cmp_ngt_f64_e64 s[12:13], 0, v[22:23]
	v_cmp_ngt_f64_e64 s[14:15], 0, v[58:59]
	s_or_b64 s[14:15], s[12:13], s[14:15]
	v_cmp_ngt_f64_e64 s[12:13], 0, v[46:47]
	s_or_b64 s[12:13], s[14:15], s[12:13]
	s_and_b64 exec, exec, s[12:13]
	s_cbranch_execz .LBB0_41
; %bb.36:
	v_cmp_le_f64_e64 s[12:13], 0, v[26:27]
	v_cmp_le_f64_e64 s[14:15], 0, v[62:63]
	s_and_b64 s[14:15], s[12:13], s[14:15]
	v_cmp_le_f64_e64 s[12:13], 0, v[54:55]
	s_and_b64 s[14:15], s[12:13], s[14:15]
	v_cmp_gt_f64_e64 s[12:13], 1.0, v[26:27]
	s_and_b64 s[14:15], s[12:13], s[14:15]
	v_cmp_gt_f64_e64 s[12:13], 1.0, v[62:63]
	;; [unrolled: 2-line block ×3, first 2 shown]
	s_and_b64 s[14:15], s[12:13], s[14:15]
	v_cmp_le_f64_e64 s[12:13], 0, v[24:25]
	s_and_b64 s[14:15], s[12:13], s[14:15]
	v_cmp_le_f64_e64 s[12:13], 0, v[60:61]
	s_and_b64 s[14:15], s[14:15], s[12:13]
	v_cmp_le_f64_e64 s[12:13], 0, v[50:51]
	s_and_b64 s[14:15], s[14:15], s[12:13]
	v_cmp_gt_f64_e64 s[12:13], 1.0, v[24:25]
	s_and_b64 s[14:15], s[12:13], s[14:15]
	v_cmp_gt_f64_e64 s[12:13], 1.0, v[60:61]
	;; [unrolled: 2-line block ×3, first 2 shown]
	s_and_b64 s[12:13], s[14:15], s[12:13]
	v_mov_b32_e32 v1, 8
	s_and_saveexec_b64 s[18:19], s[12:13]
	s_cbranch_execz .LBB0_40
; %bb.37:
	v_cmp_nge_f64_e64 s[12:13], v[22:23], v[36:37]
	v_cmp_nge_f64_e64 s[14:15], v[58:59], v[36:37]
	s_or_b64 s[14:15], s[12:13], s[14:15]
	v_cmp_nge_f64_e64 s[12:13], v[46:47], v[36:37]
	s_or_b64 s[12:13], s[14:15], s[12:13]
	v_mov_b32_e32 v1, 4
	s_and_saveexec_b64 s[20:21], s[12:13]
	s_cbranch_execz .LBB0_39
; %bb.38:
	v_cmp_le_f64_e64 s[12:13], 0, v[22:23]
	v_cmp_le_f64_e64 s[14:15], 0, v[58:59]
	s_and_b64 s[14:15], s[12:13], s[14:15]
	v_cmp_le_f64_e64 s[12:13], 0, v[46:47]
	s_and_b64 s[14:15], s[14:15], s[12:13]
	v_cmp_lt_f64_e64 s[12:13], v[22:23], v[36:37]
	s_and_b64 s[14:15], s[12:13], s[14:15]
	v_cmp_lt_f64_e64 s[12:13], v[58:59], v[36:37]
	;; [unrolled: 2-line block ×3, first 2 shown]
	v_mov_b32_e32 v1, 0
	v_mov_b32_e32 v58, 8
	s_and_b64 s[12:13], s[14:15], s[12:13]
	v_cndmask_b32_e64 v1, v58, v1, s[12:13]
.LBB0_39:
	s_or_b64 exec, exec, s[20:21]
.LBB0_40:
	s_or_b64 exec, exec, s[18:19]
	buffer_load_dword v58, v1, s[0:3], 0 offen
	s_waitcnt vmcnt(0)
	v_or_b32_e32 v58, 8, v58
	buffer_store_dword v58, v1, s[0:3], 0 offen
.LBB0_41:
	s_or_b64 exec, exec, s[16:17]
	buffer_load_dword v100, off, s[0:3], 0 offset:248
	buffer_load_dword v101, off, s[0:3], 0 offset:252
	;; [unrolled: 1-line block ×24, first 2 shown]
	s_mov_b32 s12, 0
	s_mov_b32 s13, 0x3fd00000
	s_waitcnt vmcnt(22)
	v_add_f64 v[78:79], v[100:101], -v[2:3]
	v_mul_f64 v[98:99], v[34:35], v[78:79]
	s_waitcnt vmcnt(20)
	v_add_f64 v[60:61], v[100:101], v[82:83]
	v_add_f64 v[80:81], v[82:83], -v[2:3]
	v_cmp_gt_f64_e64 s[16:17], 0, v[98:99]
	s_waitcnt vmcnt(17)
	v_add_f64 v[96:97], v[106:107], -v[10:11]
	v_mul_f64 v[96:97], v[8:9], v[96:97]
	s_waitcnt vmcnt(14)
	v_add_f64 v[62:63], v[106:107], v[86:87]
	v_add_f64 v[102:103], v[86:87], -v[10:11]
	s_waitcnt vmcnt(11)
	v_add_f64 v[94:95], v[114:115], -v[6:7]
	s_waitcnt vmcnt(8)
	v_add_f64 v[70:71], v[114:115], v[90:91]
	v_add_f64 v[58:59], v[90:91], -v[6:7]
	s_waitcnt vmcnt(6)
	v_add_f64 v[108:109], v[60:61], v[92:93]
	s_waitcnt vmcnt(5)
	v_add_f64 v[110:111], v[62:63], v[84:85]
	;; [unrolled: 2-line block ×3, first 2 shown]
	v_mul_f64 v[62:63], v[34:35], v[80:81]
	s_waitcnt vmcnt(2)
	v_add_f64 v[78:79], v[108:109], v[116:117]
	v_fma_f64 v[78:79], v[78:79], s[12:13], -v[2:3]
	v_mul_f64 v[122:123], v[34:35], v[78:79]
	s_waitcnt vmcnt(1)
	v_add_f64 v[80:81], v[110:111], v[104:105]
	s_waitcnt vmcnt(0)
	v_add_f64 v[70:71], v[70:71], v[112:113]
	v_cmp_gt_f64_e64 s[20:21], 0, v[122:123]
	v_fma_f64 v[80:81], v[80:81], s[12:13], -v[10:11]
	v_fma_f64 v[118:119], v[70:71], s[12:13], -v[6:7]
	s_and_b64 s[14:15], s[16:17], s[20:21]
	v_cmp_gt_f64_e64 s[12:13], 0, v[62:63]
	s_and_b64 s[14:15], s[14:15], s[12:13]
	v_mul_f64 v[60:61], v[8:9], v[102:103]
	v_mul_f64 v[120:121], v[8:9], v[80:81]
	s_xor_b64 s[14:15], s[14:15], -1
	s_and_saveexec_b64 s[22:23], s[14:15]
	s_cbranch_execz .LBB0_51
; %bb.42:
	v_cmp_nle_f64_e64 s[14:15], 1.0, v[98:99]
	v_cmp_nle_f64_e64 s[18:19], 1.0, v[122:123]
	s_or_b64 s[18:19], s[14:15], s[18:19]
	v_cmp_nle_f64_e64 s[14:15], 1.0, v[62:63]
	s_or_b64 s[14:15], s[18:19], s[14:15]
	s_and_b64 exec, exec, s[14:15]
	s_cbranch_execz .LBB0_51
; %bb.43:
	v_cmp_ngt_f64_e64 s[14:15], 0, v[96:97]
	v_cmp_ngt_f64_e64 s[18:19], 0, v[120:121]
	s_or_b64 s[18:19], s[14:15], s[18:19]
	v_cmp_ngt_f64_e64 s[14:15], 0, v[60:61]
	s_or_b64 s[14:15], s[18:19], s[14:15]
	s_and_b64 exec, exec, s[14:15]
	s_cbranch_execz .LBB0_51
; %bb.44:
	v_cmp_nle_f64_e64 s[14:15], 1.0, v[96:97]
	v_cmp_nle_f64_e64 s[18:19], 1.0, v[120:121]
	s_or_b64 s[18:19], s[14:15], s[18:19]
	v_cmp_nle_f64_e64 s[14:15], 1.0, v[60:61]
	s_or_b64 s[14:15], s[18:19], s[14:15]
	s_and_b64 exec, exec, s[14:15]
	s_cbranch_execz .LBB0_51
; %bb.45:
	v_cmp_ngt_f64_e64 s[14:15], 0, v[94:95]
	v_cmp_ngt_f64_e64 s[18:19], 0, v[118:119]
	s_or_b64 s[18:19], s[14:15], s[18:19]
	v_cmp_ngt_f64_e64 s[14:15], 0, v[58:59]
	s_or_b64 s[14:15], s[18:19], s[14:15]
	s_and_b64 exec, exec, s[14:15]
	s_cbranch_execz .LBB0_51
; %bb.46:
	v_cmp_le_f64_e64 s[14:15], 0, v[98:99]
	v_cmp_le_f64_e64 s[18:19], 0, v[122:123]
	s_and_b64 s[18:19], s[14:15], s[18:19]
	v_cmp_le_f64_e64 s[14:15], 0, v[62:63]
	s_and_b64 s[18:19], s[18:19], s[14:15]
	v_cmp_gt_f64_e64 s[14:15], 1.0, v[98:99]
	s_and_b64 s[18:19], s[14:15], s[18:19]
	v_cmp_gt_f64_e64 s[14:15], 1.0, v[122:123]
	;; [unrolled: 2-line block ×3, first 2 shown]
	s_and_b64 s[18:19], s[18:19], s[14:15]
	v_cmp_le_f64_e64 s[14:15], 0, v[96:97]
	s_and_b64 s[18:19], s[14:15], s[18:19]
	v_cmp_le_f64_e64 s[14:15], 0, v[120:121]
	;; [unrolled: 2-line block ×3, first 2 shown]
	s_and_b64 s[18:19], s[18:19], s[14:15]
	v_cmp_gt_f64_e64 s[14:15], 1.0, v[96:97]
	s_and_b64 s[18:19], s[14:15], s[18:19]
	v_cmp_gt_f64_e64 s[14:15], 1.0, v[120:121]
	;; [unrolled: 2-line block ×3, first 2 shown]
	s_and_b64 s[14:15], s[18:19], s[14:15]
	v_mov_b32_e32 v1, 8
	s_and_saveexec_b64 s[24:25], s[14:15]
	s_cbranch_execz .LBB0_50
; %bb.47:
	v_cmp_nge_f64_e64 s[14:15], v[94:95], v[36:37]
	v_cmp_nge_f64_e64 s[18:19], v[118:119], v[36:37]
	s_or_b64 s[18:19], s[14:15], s[18:19]
	v_cmp_nge_f64_e64 s[14:15], v[58:59], v[36:37]
	s_or_b64 s[14:15], s[18:19], s[14:15]
	v_mov_b32_e32 v1, 4
	s_and_saveexec_b64 s[26:27], s[14:15]
	s_cbranch_execz .LBB0_49
; %bb.48:
	v_cmp_le_f64_e64 s[14:15], 0, v[94:95]
	v_cmp_le_f64_e64 s[18:19], 0, v[118:119]
	s_and_b64 s[18:19], s[14:15], s[18:19]
	v_cmp_le_f64_e64 s[14:15], 0, v[58:59]
	s_and_b64 s[18:19], s[18:19], s[14:15]
	v_cmp_lt_f64_e64 s[14:15], v[94:95], v[36:37]
	s_and_b64 s[18:19], s[14:15], s[18:19]
	v_cmp_lt_f64_e64 s[14:15], v[118:119], v[36:37]
	;; [unrolled: 2-line block ×3, first 2 shown]
	v_mov_b32_e32 v1, 0
	v_mov_b32_e32 v70, 8
	s_and_b64 s[14:15], s[18:19], s[14:15]
	v_cndmask_b32_e64 v1, v70, v1, s[14:15]
.LBB0_49:
	s_or_b64 exec, exec, s[26:27]
.LBB0_50:
	s_or_b64 exec, exec, s[24:25]
	buffer_load_dword v70, v1, s[0:3], 0 offen
	s_waitcnt vmcnt(0)
	v_or_b32_e32 v70, 16, v70
	buffer_store_dword v70, v1, s[0:3], 0 offen
.LBB0_51:
	s_or_b64 exec, exec, s[22:23]
	v_add_f64 v[70:71], v[92:93], -v[2:3]
	v_mul_f64 v[80:81], v[34:35], v[70:71]
	s_and_b64 s[18:19], s[12:13], s[20:21]
	v_cmp_gt_f64_e64 s[14:15], 0, v[80:81]
	v_add_f64 v[70:71], v[84:85], -v[10:11]
	s_and_b64 s[18:19], s[18:19], s[14:15]
	v_mul_f64 v[78:79], v[8:9], v[70:71]
	v_add_f64 v[70:71], v[88:89], -v[6:7]
	s_xor_b64 s[18:19], s[18:19], -1
	s_and_saveexec_b64 s[24:25], s[18:19]
	s_cbranch_execz .LBB0_61
; %bb.52:
	v_cmp_nle_f64_e64 s[18:19], 1.0, v[62:63]
	v_cmp_nle_f64_e64 s[22:23], 1.0, v[122:123]
	s_or_b64 s[22:23], s[18:19], s[22:23]
	v_cmp_nle_f64_e64 s[18:19], 1.0, v[80:81]
	s_or_b64 s[18:19], s[22:23], s[18:19]
	s_and_b64 exec, exec, s[18:19]
	s_cbranch_execz .LBB0_61
; %bb.53:
	v_cmp_ngt_f64_e64 s[18:19], 0, v[60:61]
	v_cmp_ngt_f64_e64 s[22:23], 0, v[120:121]
	s_or_b64 s[22:23], s[18:19], s[22:23]
	v_cmp_ngt_f64_e64 s[18:19], 0, v[78:79]
	s_or_b64 s[18:19], s[22:23], s[18:19]
	s_and_b64 exec, exec, s[18:19]
	s_cbranch_execz .LBB0_61
; %bb.54:
	v_cmp_nle_f64_e64 s[18:19], 1.0, v[60:61]
	v_cmp_nle_f64_e64 s[22:23], 1.0, v[120:121]
	s_or_b64 s[22:23], s[18:19], s[22:23]
	v_cmp_nle_f64_e64 s[18:19], 1.0, v[78:79]
	s_or_b64 s[18:19], s[22:23], s[18:19]
	s_and_b64 exec, exec, s[18:19]
	s_cbranch_execz .LBB0_61
; %bb.55:
	v_cmp_ngt_f64_e64 s[18:19], 0, v[58:59]
	v_cmp_ngt_f64_e64 s[22:23], 0, v[118:119]
	s_or_b64 s[22:23], s[18:19], s[22:23]
	v_cmp_ngt_f64_e64 s[18:19], 0, v[70:71]
	s_or_b64 s[18:19], s[22:23], s[18:19]
	s_and_b64 exec, exec, s[18:19]
	s_cbranch_execz .LBB0_61
; %bb.56:
	v_cmp_le_f64_e64 s[18:19], 0, v[62:63]
	v_cmp_le_f64_e64 s[22:23], 0, v[122:123]
	s_and_b64 s[22:23], s[18:19], s[22:23]
	v_cmp_le_f64_e64 s[18:19], 0, v[80:81]
	s_and_b64 s[22:23], s[22:23], s[18:19]
	v_cmp_gt_f64_e64 s[18:19], 1.0, v[62:63]
	s_and_b64 s[22:23], s[18:19], s[22:23]
	v_cmp_gt_f64_e64 s[18:19], 1.0, v[122:123]
	;; [unrolled: 2-line block ×3, first 2 shown]
	s_and_b64 s[22:23], s[22:23], s[18:19]
	v_cmp_le_f64_e64 s[18:19], 0, v[60:61]
	s_and_b64 s[22:23], s[18:19], s[22:23]
	v_cmp_le_f64_e64 s[18:19], 0, v[120:121]
	;; [unrolled: 2-line block ×3, first 2 shown]
	s_and_b64 s[22:23], s[22:23], s[18:19]
	v_cmp_gt_f64_e64 s[18:19], 1.0, v[60:61]
	s_and_b64 s[22:23], s[18:19], s[22:23]
	v_cmp_gt_f64_e64 s[18:19], 1.0, v[120:121]
	;; [unrolled: 2-line block ×3, first 2 shown]
	s_and_b64 s[18:19], s[22:23], s[18:19]
	v_mov_b32_e32 v1, 8
	s_and_saveexec_b64 s[26:27], s[18:19]
	s_cbranch_execz .LBB0_60
; %bb.57:
	v_cmp_nge_f64_e64 s[18:19], v[58:59], v[36:37]
	v_cmp_nge_f64_e64 s[22:23], v[118:119], v[36:37]
	s_or_b64 s[22:23], s[18:19], s[22:23]
	v_cmp_nge_f64_e64 s[18:19], v[70:71], v[36:37]
	s_or_b64 s[18:19], s[22:23], s[18:19]
	v_mov_b32_e32 v1, 4
	s_and_saveexec_b64 s[28:29], s[18:19]
	s_cbranch_execz .LBB0_59
; %bb.58:
	v_cmp_le_f64_e64 s[18:19], 0, v[58:59]
	v_cmp_le_f64_e64 s[22:23], 0, v[118:119]
	s_and_b64 s[22:23], s[18:19], s[22:23]
	v_cmp_le_f64_e64 s[18:19], 0, v[70:71]
	s_and_b64 s[22:23], s[22:23], s[18:19]
	v_cmp_lt_f64_e64 s[18:19], v[58:59], v[36:37]
	s_and_b64 s[22:23], s[18:19], s[22:23]
	v_cmp_lt_f64_e64 s[18:19], v[118:119], v[36:37]
	;; [unrolled: 2-line block ×3, first 2 shown]
	v_mov_b32_e32 v1, 0
	v_mov_b32_e32 v102, 8
	s_and_b64 s[18:19], s[22:23], s[18:19]
	v_cndmask_b32_e64 v1, v102, v1, s[18:19]
.LBB0_59:
	s_or_b64 exec, exec, s[28:29]
.LBB0_60:
	s_or_b64 exec, exec, s[26:27]
	buffer_load_dword v102, v1, s[0:3], 0 offen
	s_waitcnt vmcnt(0)
	v_or_b32_e32 v102, 32, v102
	buffer_store_dword v102, v1, s[0:3], 0 offen
.LBB0_61:
	s_or_b64 exec, exec, s[24:25]
	v_add_f64 v[102:103], v[116:117], -v[2:3]
	v_mul_f64 v[110:111], v[34:35], v[102:103]
	s_and_b64 s[22:23], s[14:15], s[20:21]
	v_cmp_gt_f64_e64 s[18:19], 0, v[110:111]
	v_add_f64 v[102:103], v[104:105], -v[10:11]
	s_and_b64 s[22:23], s[22:23], s[18:19]
	v_mul_f64 v[108:109], v[8:9], v[102:103]
	v_add_f64 v[102:103], v[112:113], -v[6:7]
	s_xor_b64 s[22:23], s[22:23], -1
	s_and_saveexec_b64 s[26:27], s[22:23]
	s_cbranch_execz .LBB0_71
; %bb.62:
	v_cmp_nle_f64_e64 s[22:23], 1.0, v[80:81]
	v_cmp_nle_f64_e64 s[24:25], 1.0, v[122:123]
	s_or_b64 s[24:25], s[22:23], s[24:25]
	v_cmp_nle_f64_e64 s[22:23], 1.0, v[110:111]
	s_or_b64 s[22:23], s[24:25], s[22:23]
	s_and_b64 exec, exec, s[22:23]
	s_cbranch_execz .LBB0_71
; %bb.63:
	v_cmp_ngt_f64_e64 s[22:23], 0, v[78:79]
	v_cmp_ngt_f64_e64 s[24:25], 0, v[120:121]
	s_or_b64 s[24:25], s[22:23], s[24:25]
	v_cmp_ngt_f64_e64 s[22:23], 0, v[108:109]
	s_or_b64 s[22:23], s[24:25], s[22:23]
	s_and_b64 exec, exec, s[22:23]
	s_cbranch_execz .LBB0_71
; %bb.64:
	v_cmp_nle_f64_e64 s[22:23], 1.0, v[78:79]
	v_cmp_nle_f64_e64 s[24:25], 1.0, v[120:121]
	s_or_b64 s[24:25], s[22:23], s[24:25]
	v_cmp_nle_f64_e64 s[22:23], 1.0, v[108:109]
	s_or_b64 s[22:23], s[24:25], s[22:23]
	s_and_b64 exec, exec, s[22:23]
	s_cbranch_execz .LBB0_71
; %bb.65:
	v_cmp_ngt_f64_e64 s[22:23], 0, v[70:71]
	v_cmp_ngt_f64_e64 s[24:25], 0, v[118:119]
	s_or_b64 s[24:25], s[22:23], s[24:25]
	v_cmp_ngt_f64_e64 s[22:23], 0, v[102:103]
	s_or_b64 s[22:23], s[24:25], s[22:23]
	s_and_b64 exec, exec, s[22:23]
	s_cbranch_execz .LBB0_71
; %bb.66:
	v_cmp_le_f64_e64 s[22:23], 0, v[80:81]
	v_cmp_le_f64_e64 s[24:25], 0, v[122:123]
	s_and_b64 s[24:25], s[22:23], s[24:25]
	v_cmp_le_f64_e64 s[22:23], 0, v[110:111]
	s_and_b64 s[24:25], s[24:25], s[22:23]
	v_cmp_gt_f64_e64 s[22:23], 1.0, v[80:81]
	s_and_b64 s[24:25], s[22:23], s[24:25]
	v_cmp_gt_f64_e64 s[22:23], 1.0, v[122:123]
	;; [unrolled: 2-line block ×3, first 2 shown]
	s_and_b64 s[24:25], s[24:25], s[22:23]
	v_cmp_le_f64_e64 s[22:23], 0, v[78:79]
	s_and_b64 s[24:25], s[22:23], s[24:25]
	v_cmp_le_f64_e64 s[22:23], 0, v[120:121]
	s_and_b64 s[24:25], s[24:25], s[22:23]
	v_cmp_le_f64_e64 s[22:23], 0, v[108:109]
	s_and_b64 s[24:25], s[24:25], s[22:23]
	v_cmp_gt_f64_e64 s[22:23], 1.0, v[78:79]
	s_and_b64 s[24:25], s[22:23], s[24:25]
	v_cmp_gt_f64_e64 s[22:23], 1.0, v[120:121]
	;; [unrolled: 2-line block ×3, first 2 shown]
	s_and_b64 s[22:23], s[24:25], s[22:23]
	v_mov_b32_e32 v1, 8
	s_and_saveexec_b64 s[28:29], s[22:23]
	s_cbranch_execz .LBB0_70
; %bb.67:
	v_cmp_nge_f64_e64 s[22:23], v[70:71], v[36:37]
	v_cmp_nge_f64_e64 s[24:25], v[118:119], v[36:37]
	s_or_b64 s[24:25], s[22:23], s[24:25]
	v_cmp_nge_f64_e64 s[22:23], v[102:103], v[36:37]
	s_or_b64 s[22:23], s[24:25], s[22:23]
	v_mov_b32_e32 v1, 4
	s_and_saveexec_b64 s[30:31], s[22:23]
	s_cbranch_execz .LBB0_69
; %bb.68:
	v_cmp_le_f64_e64 s[22:23], 0, v[70:71]
	v_cmp_le_f64_e64 s[24:25], 0, v[118:119]
	s_and_b64 s[24:25], s[22:23], s[24:25]
	v_cmp_le_f64_e64 s[22:23], 0, v[102:103]
	s_and_b64 s[24:25], s[24:25], s[22:23]
	v_cmp_lt_f64_e64 s[22:23], v[70:71], v[36:37]
	s_and_b64 s[24:25], s[22:23], s[24:25]
	v_cmp_lt_f64_e64 s[22:23], v[118:119], v[36:37]
	;; [unrolled: 2-line block ×3, first 2 shown]
	v_mov_b32_e32 v1, 0
	v_mov_b32_e32 v124, 8
	s_and_b64 s[22:23], s[24:25], s[22:23]
	v_cndmask_b32_e64 v1, v124, v1, s[22:23]
.LBB0_69:
	s_or_b64 exec, exec, s[30:31]
.LBB0_70:
	s_or_b64 exec, exec, s[28:29]
	buffer_load_dword v124, v1, s[0:3], 0 offen
	s_waitcnt vmcnt(0)
	v_or_b32_e32 v124, 64, v124
	buffer_store_dword v124, v1, s[0:3], 0 offen
.LBB0_71:
	s_or_b64 exec, exec, s[26:27]
	s_and_b64 s[20:21], s[18:19], s[20:21]
	s_and_b64 s[20:21], s[16:17], s[20:21]
	s_xor_b64 s[20:21], s[20:21], -1
	s_and_saveexec_b64 s[24:25], s[20:21]
	s_cbranch_execz .LBB0_81
; %bb.72:
	v_cmp_nle_f64_e64 s[20:21], 1.0, v[110:111]
	v_cmp_nle_f64_e64 s[22:23], 1.0, v[122:123]
	s_or_b64 s[22:23], s[20:21], s[22:23]
	v_cmp_nle_f64_e64 s[20:21], 1.0, v[98:99]
	s_or_b64 s[20:21], s[20:21], s[22:23]
	s_and_b64 exec, exec, s[20:21]
	s_cbranch_execz .LBB0_81
; %bb.73:
	v_cmp_ngt_f64_e64 s[20:21], 0, v[108:109]
	v_cmp_ngt_f64_e64 s[22:23], 0, v[120:121]
	s_or_b64 s[22:23], s[20:21], s[22:23]
	v_cmp_ngt_f64_e64 s[20:21], 0, v[96:97]
	s_or_b64 s[20:21], s[22:23], s[20:21]
	s_and_b64 exec, exec, s[20:21]
	s_cbranch_execz .LBB0_81
; %bb.74:
	v_cmp_nle_f64_e64 s[20:21], 1.0, v[108:109]
	v_cmp_nle_f64_e64 s[22:23], 1.0, v[120:121]
	s_or_b64 s[22:23], s[20:21], s[22:23]
	v_cmp_nle_f64_e64 s[20:21], 1.0, v[96:97]
	s_or_b64 s[20:21], s[22:23], s[20:21]
	s_and_b64 exec, exec, s[20:21]
	s_cbranch_execz .LBB0_81
; %bb.75:
	v_cmp_ngt_f64_e64 s[20:21], 0, v[102:103]
	v_cmp_ngt_f64_e64 s[22:23], 0, v[118:119]
	s_or_b64 s[22:23], s[20:21], s[22:23]
	v_cmp_ngt_f64_e64 s[20:21], 0, v[94:95]
	s_or_b64 s[20:21], s[22:23], s[20:21]
	s_and_b64 exec, exec, s[20:21]
	s_cbranch_execz .LBB0_81
; %bb.76:
	v_cmp_le_f64_e64 s[20:21], 0, v[110:111]
	v_cmp_le_f64_e64 s[22:23], 0, v[122:123]
	s_and_b64 s[22:23], s[20:21], s[22:23]
	v_cmp_le_f64_e64 s[20:21], 0, v[98:99]
	s_and_b64 s[22:23], s[20:21], s[22:23]
	v_cmp_gt_f64_e64 s[20:21], 1.0, v[110:111]
	s_and_b64 s[22:23], s[20:21], s[22:23]
	v_cmp_gt_f64_e64 s[20:21], 1.0, v[122:123]
	;; [unrolled: 2-line block ×3, first 2 shown]
	s_and_b64 s[22:23], s[20:21], s[22:23]
	v_cmp_le_f64_e64 s[20:21], 0, v[108:109]
	s_and_b64 s[22:23], s[20:21], s[22:23]
	v_cmp_le_f64_e64 s[20:21], 0, v[120:121]
	;; [unrolled: 2-line block ×3, first 2 shown]
	s_and_b64 s[22:23], s[22:23], s[20:21]
	v_cmp_gt_f64_e64 s[20:21], 1.0, v[108:109]
	s_and_b64 s[22:23], s[20:21], s[22:23]
	v_cmp_gt_f64_e64 s[20:21], 1.0, v[120:121]
	;; [unrolled: 2-line block ×3, first 2 shown]
	s_and_b64 s[20:21], s[22:23], s[20:21]
	v_mov_b32_e32 v1, 8
	s_and_saveexec_b64 s[26:27], s[20:21]
	s_cbranch_execz .LBB0_80
; %bb.77:
	v_cmp_nge_f64_e64 s[20:21], v[102:103], v[36:37]
	v_cmp_nge_f64_e64 s[22:23], v[118:119], v[36:37]
	s_or_b64 s[22:23], s[20:21], s[22:23]
	v_cmp_nge_f64_e64 s[20:21], v[94:95], v[36:37]
	s_or_b64 s[20:21], s[22:23], s[20:21]
	v_mov_b32_e32 v1, 4
	s_and_saveexec_b64 s[28:29], s[20:21]
	s_cbranch_execz .LBB0_79
; %bb.78:
	v_cmp_le_f64_e64 s[20:21], 0, v[102:103]
	v_cmp_le_f64_e64 s[22:23], 0, v[118:119]
	s_and_b64 s[22:23], s[20:21], s[22:23]
	v_cmp_le_f64_e64 s[20:21], 0, v[94:95]
	s_and_b64 s[22:23], s[22:23], s[20:21]
	v_cmp_lt_f64_e64 s[20:21], v[102:103], v[36:37]
	s_and_b64 s[22:23], s[20:21], s[22:23]
	v_cmp_lt_f64_e64 s[20:21], v[118:119], v[36:37]
	;; [unrolled: 2-line block ×3, first 2 shown]
	v_mov_b32_e32 v1, 0
	v_mov_b32_e32 v118, 8
	s_and_b64 s[20:21], s[22:23], s[20:21]
	v_cndmask_b32_e64 v1, v118, v1, s[20:21]
.LBB0_79:
	s_or_b64 exec, exec, s[28:29]
.LBB0_80:
	s_or_b64 exec, exec, s[26:27]
	buffer_load_dword v118, v1, s[0:3], 0 offen
	s_waitcnt vmcnt(0)
	v_or_b32_e32 v118, 0x80, v118
	buffer_store_dword v118, v1, s[0:3], 0 offen
.LBB0_81:
	s_or_b64 exec, exec, s[24:25]
	v_add_f64 v[118:119], v[66:67], v[28:29]
	v_add_f64 v[118:119], v[118:119], v[82:83]
	s_mov_b32 s20, 0
	v_add_f64 v[118:119], v[100:101], v[118:119]
	s_mov_b32 s21, 0x3fd00000
	v_fma_f64 v[118:119], v[118:119], s[20:21], -v[2:3]
	v_mul_f64 v[122:123], v[34:35], v[118:119]
	v_add_f64 v[118:119], v[68:69], v[38:39]
	v_add_f64 v[118:119], v[118:119], v[86:87]
	;; [unrolled: 1-line block ×3, first 2 shown]
	v_fma_f64 v[118:119], v[118:119], s[20:21], -v[10:11]
	v_mul_f64 v[120:121], v[8:9], v[118:119]
	v_add_f64 v[118:119], v[74:75], v[40:41]
	v_add_f64 v[118:119], v[118:119], v[90:91]
	;; [unrolled: 1-line block ×3, first 2 shown]
	v_fma_f64 v[118:119], v[118:119], s[20:21], -v[6:7]
	v_cmp_gt_f64_e64 s[20:21], 0, v[122:123]
	s_and_b64 s[22:23], s[8:9], s[20:21]
	s_and_b64 s[22:23], s[22:23], vcc
	s_xor_b64 s[22:23], s[22:23], -1
	s_and_saveexec_b64 s[26:27], s[22:23]
	s_cbranch_execz .LBB0_91
; %bb.82:
	v_cmp_nle_f64_e64 s[22:23], 1.0, v[54:55]
	v_cmp_nle_f64_e64 s[24:25], 1.0, v[122:123]
	s_or_b64 s[24:25], s[22:23], s[24:25]
	v_cmp_nle_f64_e64 s[22:23], 1.0, v[26:27]
	s_or_b64 s[22:23], s[24:25], s[22:23]
	s_and_b64 exec, exec, s[22:23]
	s_cbranch_execz .LBB0_91
; %bb.83:
	v_cmp_ngt_f64_e64 s[22:23], 0, v[50:51]
	v_cmp_ngt_f64_e64 s[24:25], 0, v[120:121]
	s_or_b64 s[24:25], s[22:23], s[24:25]
	v_cmp_ngt_f64_e64 s[22:23], 0, v[24:25]
	s_or_b64 s[22:23], s[24:25], s[22:23]
	s_and_b64 exec, exec, s[22:23]
	s_cbranch_execz .LBB0_91
; %bb.84:
	v_cmp_nle_f64_e64 s[22:23], 1.0, v[50:51]
	v_cmp_nle_f64_e64 s[24:25], 1.0, v[120:121]
	s_or_b64 s[24:25], s[22:23], s[24:25]
	v_cmp_nle_f64_e64 s[22:23], 1.0, v[24:25]
	s_or_b64 s[22:23], s[24:25], s[22:23]
	s_and_b64 exec, exec, s[22:23]
	s_cbranch_execz .LBB0_91
; %bb.85:
	v_cmp_ngt_f64_e64 s[22:23], 0, v[46:47]
	v_cmp_ngt_f64_e64 s[24:25], 0, v[118:119]
	s_or_b64 s[24:25], s[22:23], s[24:25]
	v_cmp_ngt_f64_e64 s[22:23], 0, v[22:23]
	s_or_b64 s[22:23], s[24:25], s[22:23]
	s_and_b64 exec, exec, s[22:23]
	s_cbranch_execz .LBB0_91
; %bb.86:
	v_cmp_le_f64_e64 s[22:23], 0, v[54:55]
	v_cmp_le_f64_e64 s[24:25], 0, v[122:123]
	s_and_b64 s[24:25], s[22:23], s[24:25]
	v_cmp_le_f64_e64 s[22:23], 0, v[26:27]
	s_and_b64 s[24:25], s[24:25], s[22:23]
	v_cmp_gt_f64_e64 s[22:23], 1.0, v[54:55]
	s_and_b64 s[24:25], s[22:23], s[24:25]
	v_cmp_gt_f64_e64 s[22:23], 1.0, v[122:123]
	;; [unrolled: 2-line block ×3, first 2 shown]
	s_and_b64 s[24:25], s[24:25], s[22:23]
	v_cmp_le_f64_e64 s[22:23], 0, v[50:51]
	s_and_b64 s[24:25], s[22:23], s[24:25]
	v_cmp_le_f64_e64 s[22:23], 0, v[120:121]
	;; [unrolled: 2-line block ×3, first 2 shown]
	s_and_b64 s[24:25], s[24:25], s[22:23]
	v_cmp_gt_f64_e64 s[22:23], 1.0, v[50:51]
	s_and_b64 s[24:25], s[22:23], s[24:25]
	v_cmp_gt_f64_e64 s[22:23], 1.0, v[120:121]
	;; [unrolled: 2-line block ×3, first 2 shown]
	s_and_b64 s[22:23], s[24:25], s[22:23]
	v_mov_b32_e32 v1, 8
	s_and_saveexec_b64 s[28:29], s[22:23]
	s_cbranch_execz .LBB0_90
; %bb.87:
	v_cmp_nge_f64_e64 s[22:23], v[46:47], v[36:37]
	v_cmp_nge_f64_e64 s[24:25], v[118:119], v[36:37]
	s_or_b64 s[24:25], s[22:23], s[24:25]
	v_cmp_nge_f64_e64 s[22:23], v[22:23], v[36:37]
	s_or_b64 s[22:23], s[24:25], s[22:23]
	v_mov_b32_e32 v1, 4
	s_and_saveexec_b64 s[30:31], s[22:23]
	s_cbranch_execz .LBB0_89
; %bb.88:
	v_cmp_le_f64_e64 s[22:23], 0, v[46:47]
	v_cmp_le_f64_e64 s[24:25], 0, v[118:119]
	s_and_b64 s[24:25], s[22:23], s[24:25]
	v_cmp_le_f64_e64 s[22:23], 0, v[22:23]
	s_and_b64 s[24:25], s[24:25], s[22:23]
	v_cmp_lt_f64_e64 s[22:23], v[46:47], v[36:37]
	s_and_b64 s[24:25], s[22:23], s[24:25]
	v_cmp_lt_f64_e64 s[22:23], v[118:119], v[36:37]
	;; [unrolled: 2-line block ×3, first 2 shown]
	v_mov_b32_e32 v1, 0
	v_mov_b32_e32 v124, 8
	s_and_b64 s[22:23], s[24:25], s[22:23]
	v_cndmask_b32_e64 v1, v124, v1, s[22:23]
.LBB0_89:
	s_or_b64 exec, exec, s[30:31]
.LBB0_90:
	s_or_b64 exec, exec, s[28:29]
	buffer_load_dword v124, v1, s[0:3], 0 offen
	s_waitcnt vmcnt(0)
	v_or_b32_e32 v124, 0x100, v124
	buffer_store_dword v124, v1, s[0:3], 0 offen
.LBB0_91:
	s_or_b64 exec, exec, s[26:27]
	s_and_b64 s[22:23], vcc, s[20:21]
	s_and_b64 s[22:23], s[22:23], s[12:13]
	s_xor_b64 s[22:23], s[22:23], -1
	s_and_saveexec_b64 s[26:27], s[22:23]
	s_cbranch_execz .LBB0_101
; %bb.92:
	v_cmp_nle_f64_e64 s[22:23], 1.0, v[26:27]
	v_cmp_nle_f64_e64 s[24:25], 1.0, v[122:123]
	s_or_b64 s[24:25], s[22:23], s[24:25]
	v_cmp_nle_f64_e64 s[22:23], 1.0, v[62:63]
	s_or_b64 s[22:23], s[24:25], s[22:23]
	s_and_b64 exec, exec, s[22:23]
	s_cbranch_execz .LBB0_101
; %bb.93:
	v_cmp_ngt_f64_e64 s[22:23], 0, v[24:25]
	v_cmp_ngt_f64_e64 s[24:25], 0, v[120:121]
	s_or_b64 s[24:25], s[22:23], s[24:25]
	v_cmp_ngt_f64_e64 s[22:23], 0, v[60:61]
	s_or_b64 s[22:23], s[24:25], s[22:23]
	s_and_b64 exec, exec, s[22:23]
	s_cbranch_execz .LBB0_101
; %bb.94:
	v_cmp_nle_f64_e64 s[22:23], 1.0, v[24:25]
	v_cmp_nle_f64_e64 s[24:25], 1.0, v[120:121]
	s_or_b64 s[24:25], s[22:23], s[24:25]
	v_cmp_nle_f64_e64 s[22:23], 1.0, v[60:61]
	s_or_b64 s[22:23], s[24:25], s[22:23]
	s_and_b64 exec, exec, s[22:23]
	s_cbranch_execz .LBB0_101
; %bb.95:
	v_cmp_ngt_f64_e64 s[22:23], 0, v[22:23]
	v_cmp_ngt_f64_e64 s[24:25], 0, v[118:119]
	s_or_b64 s[24:25], s[22:23], s[24:25]
	v_cmp_ngt_f64_e64 s[22:23], 0, v[58:59]
	s_or_b64 s[22:23], s[24:25], s[22:23]
	s_and_b64 exec, exec, s[22:23]
	s_cbranch_execz .LBB0_101
; %bb.96:
	v_cmp_le_f64_e64 s[22:23], 0, v[26:27]
	v_cmp_le_f64_e64 s[24:25], 0, v[122:123]
	s_and_b64 s[24:25], s[22:23], s[24:25]
	v_cmp_le_f64_e64 s[22:23], 0, v[62:63]
	s_and_b64 s[24:25], s[24:25], s[22:23]
	v_cmp_gt_f64_e64 s[22:23], 1.0, v[26:27]
	s_and_b64 s[24:25], s[22:23], s[24:25]
	v_cmp_gt_f64_e64 s[22:23], 1.0, v[122:123]
	s_and_b64 s[24:25], s[24:25], s[22:23]
	v_cmp_gt_f64_e64 s[22:23], 1.0, v[62:63]
	s_and_b64 s[24:25], s[24:25], s[22:23]
	v_cmp_le_f64_e64 s[22:23], 0, v[24:25]
	s_and_b64 s[24:25], s[22:23], s[24:25]
	v_cmp_le_f64_e64 s[22:23], 0, v[120:121]
	;; [unrolled: 2-line block ×3, first 2 shown]
	s_and_b64 s[24:25], s[24:25], s[22:23]
	v_cmp_gt_f64_e64 s[22:23], 1.0, v[24:25]
	s_and_b64 s[24:25], s[22:23], s[24:25]
	v_cmp_gt_f64_e64 s[22:23], 1.0, v[120:121]
	;; [unrolled: 2-line block ×3, first 2 shown]
	s_and_b64 s[22:23], s[24:25], s[22:23]
	v_mov_b32_e32 v1, 8
	s_and_saveexec_b64 s[28:29], s[22:23]
	s_cbranch_execz .LBB0_100
; %bb.97:
	v_cmp_nge_f64_e64 s[22:23], v[22:23], v[36:37]
	v_cmp_nge_f64_e64 s[24:25], v[118:119], v[36:37]
	s_or_b64 s[24:25], s[22:23], s[24:25]
	v_cmp_nge_f64_e64 s[22:23], v[58:59], v[36:37]
	s_or_b64 s[22:23], s[24:25], s[22:23]
	v_mov_b32_e32 v1, 4
	s_and_saveexec_b64 s[30:31], s[22:23]
	s_cbranch_execz .LBB0_99
; %bb.98:
	v_cmp_le_f64_e64 s[22:23], 0, v[22:23]
	v_cmp_le_f64_e64 s[24:25], 0, v[118:119]
	s_and_b64 s[24:25], s[22:23], s[24:25]
	v_cmp_le_f64_e64 s[22:23], 0, v[58:59]
	s_and_b64 s[24:25], s[24:25], s[22:23]
	v_cmp_lt_f64_e64 s[22:23], v[22:23], v[36:37]
	s_and_b64 s[24:25], s[22:23], s[24:25]
	v_cmp_lt_f64_e64 s[22:23], v[118:119], v[36:37]
	;; [unrolled: 2-line block ×3, first 2 shown]
	v_mov_b32_e32 v1, 0
	v_mov_b32_e32 v124, 8
	s_and_b64 s[22:23], s[24:25], s[22:23]
	v_cndmask_b32_e64 v1, v124, v1, s[22:23]
.LBB0_99:
	s_or_b64 exec, exec, s[30:31]
.LBB0_100:
	s_or_b64 exec, exec, s[28:29]
	buffer_load_dword v124, v1, s[0:3], 0 offen
	s_waitcnt vmcnt(0)
	v_or_b32_e32 v124, 0x200, v124
	buffer_store_dword v124, v1, s[0:3], 0 offen
.LBB0_101:
	s_or_b64 exec, exec, s[26:27]
	s_and_b64 s[22:23], s[12:13], s[20:21]
	s_and_b64 s[22:23], s[16:17], s[22:23]
	s_xor_b64 s[22:23], s[22:23], -1
	s_and_saveexec_b64 s[26:27], s[22:23]
	s_cbranch_execz .LBB0_111
; %bb.102:
	v_cmp_nle_f64_e64 s[22:23], 1.0, v[62:63]
	v_cmp_nle_f64_e64 s[24:25], 1.0, v[122:123]
	s_or_b64 s[24:25], s[22:23], s[24:25]
	v_cmp_nle_f64_e64 s[22:23], 1.0, v[98:99]
	s_or_b64 s[22:23], s[22:23], s[24:25]
	s_and_b64 exec, exec, s[22:23]
	s_cbranch_execz .LBB0_111
; %bb.103:
	v_cmp_ngt_f64_e64 s[22:23], 0, v[60:61]
	v_cmp_ngt_f64_e64 s[24:25], 0, v[120:121]
	s_or_b64 s[24:25], s[22:23], s[24:25]
	v_cmp_ngt_f64_e64 s[22:23], 0, v[96:97]
	s_or_b64 s[22:23], s[24:25], s[22:23]
	s_and_b64 exec, exec, s[22:23]
	s_cbranch_execz .LBB0_111
; %bb.104:
	v_cmp_nle_f64_e64 s[22:23], 1.0, v[60:61]
	v_cmp_nle_f64_e64 s[24:25], 1.0, v[120:121]
	s_or_b64 s[24:25], s[22:23], s[24:25]
	v_cmp_nle_f64_e64 s[22:23], 1.0, v[96:97]
	s_or_b64 s[22:23], s[24:25], s[22:23]
	s_and_b64 exec, exec, s[22:23]
	s_cbranch_execz .LBB0_111
; %bb.105:
	v_cmp_ngt_f64_e64 s[22:23], 0, v[58:59]
	v_cmp_ngt_f64_e64 s[24:25], 0, v[118:119]
	s_or_b64 s[24:25], s[22:23], s[24:25]
	v_cmp_ngt_f64_e64 s[22:23], 0, v[94:95]
	s_or_b64 s[22:23], s[24:25], s[22:23]
	s_and_b64 exec, exec, s[22:23]
	s_cbranch_execz .LBB0_111
; %bb.106:
	v_cmp_le_f64_e64 s[22:23], 0, v[62:63]
	v_cmp_le_f64_e64 s[24:25], 0, v[122:123]
	s_and_b64 s[24:25], s[22:23], s[24:25]
	v_cmp_le_f64_e64 s[22:23], 0, v[98:99]
	s_and_b64 s[24:25], s[22:23], s[24:25]
	v_cmp_gt_f64_e64 s[22:23], 1.0, v[62:63]
	s_and_b64 s[24:25], s[22:23], s[24:25]
	v_cmp_gt_f64_e64 s[22:23], 1.0, v[122:123]
	;; [unrolled: 2-line block ×3, first 2 shown]
	s_and_b64 s[24:25], s[22:23], s[24:25]
	v_cmp_le_f64_e64 s[22:23], 0, v[60:61]
	s_and_b64 s[24:25], s[22:23], s[24:25]
	v_cmp_le_f64_e64 s[22:23], 0, v[120:121]
	;; [unrolled: 2-line block ×3, first 2 shown]
	s_and_b64 s[24:25], s[24:25], s[22:23]
	v_cmp_gt_f64_e64 s[22:23], 1.0, v[60:61]
	s_and_b64 s[24:25], s[22:23], s[24:25]
	v_cmp_gt_f64_e64 s[22:23], 1.0, v[120:121]
	;; [unrolled: 2-line block ×3, first 2 shown]
	s_and_b64 s[22:23], s[24:25], s[22:23]
	v_mov_b32_e32 v1, 8
	s_and_saveexec_b64 s[28:29], s[22:23]
	s_cbranch_execz .LBB0_110
; %bb.107:
	v_cmp_nge_f64_e64 s[22:23], v[58:59], v[36:37]
	v_cmp_nge_f64_e64 s[24:25], v[118:119], v[36:37]
	s_or_b64 s[24:25], s[22:23], s[24:25]
	v_cmp_nge_f64_e64 s[22:23], v[94:95], v[36:37]
	s_or_b64 s[22:23], s[24:25], s[22:23]
	v_mov_b32_e32 v1, 4
	s_and_saveexec_b64 s[30:31], s[22:23]
	s_cbranch_execz .LBB0_109
; %bb.108:
	v_cmp_le_f64_e64 s[22:23], 0, v[58:59]
	v_cmp_le_f64_e64 s[24:25], 0, v[118:119]
	s_and_b64 s[24:25], s[22:23], s[24:25]
	v_cmp_le_f64_e64 s[22:23], 0, v[94:95]
	s_and_b64 s[24:25], s[24:25], s[22:23]
	v_cmp_lt_f64_e64 s[22:23], v[58:59], v[36:37]
	s_and_b64 s[24:25], s[22:23], s[24:25]
	v_cmp_lt_f64_e64 s[22:23], v[118:119], v[36:37]
	;; [unrolled: 2-line block ×3, first 2 shown]
	v_mov_b32_e32 v1, 0
	v_mov_b32_e32 v124, 8
	s_and_b64 s[22:23], s[24:25], s[22:23]
	v_cndmask_b32_e64 v1, v124, v1, s[22:23]
.LBB0_109:
	s_or_b64 exec, exec, s[30:31]
.LBB0_110:
	s_or_b64 exec, exec, s[28:29]
	buffer_load_dword v124, v1, s[0:3], 0 offen
	s_waitcnt vmcnt(0)
	v_or_b32_e32 v124, 0x400, v124
	buffer_store_dword v124, v1, s[0:3], 0 offen
.LBB0_111:
	s_or_b64 exec, exec, s[26:27]
	s_and_b64 s[20:21], s[16:17], s[20:21]
	s_and_b64 s[20:21], s[8:9], s[20:21]
	s_xor_b64 s[20:21], s[20:21], -1
	s_and_saveexec_b64 s[24:25], s[20:21]
	s_cbranch_execz .LBB0_121
; %bb.112:
	v_cmp_nle_f64_e64 s[20:21], 1.0, v[98:99]
	v_cmp_nle_f64_e64 s[22:23], 1.0, v[122:123]
	s_or_b64 s[22:23], s[20:21], s[22:23]
	v_cmp_nle_f64_e64 s[20:21], 1.0, v[54:55]
	s_or_b64 s[20:21], s[20:21], s[22:23]
	s_and_b64 exec, exec, s[20:21]
	s_cbranch_execz .LBB0_121
; %bb.113:
	v_cmp_ngt_f64_e64 s[20:21], 0, v[96:97]
	v_cmp_ngt_f64_e64 s[22:23], 0, v[120:121]
	s_or_b64 s[22:23], s[20:21], s[22:23]
	v_cmp_ngt_f64_e64 s[20:21], 0, v[50:51]
	s_or_b64 s[20:21], s[22:23], s[20:21]
	s_and_b64 exec, exec, s[20:21]
	s_cbranch_execz .LBB0_121
; %bb.114:
	v_cmp_nle_f64_e64 s[20:21], 1.0, v[96:97]
	v_cmp_nle_f64_e64 s[22:23], 1.0, v[120:121]
	s_or_b64 s[22:23], s[20:21], s[22:23]
	v_cmp_nle_f64_e64 s[20:21], 1.0, v[50:51]
	s_or_b64 s[20:21], s[22:23], s[20:21]
	s_and_b64 exec, exec, s[20:21]
	s_cbranch_execz .LBB0_121
; %bb.115:
	v_cmp_ngt_f64_e64 s[20:21], 0, v[94:95]
	v_cmp_ngt_f64_e64 s[22:23], 0, v[118:119]
	s_or_b64 s[22:23], s[20:21], s[22:23]
	v_cmp_ngt_f64_e64 s[20:21], 0, v[46:47]
	s_or_b64 s[20:21], s[22:23], s[20:21]
	s_and_b64 exec, exec, s[20:21]
	s_cbranch_execz .LBB0_121
; %bb.116:
	v_cmp_le_f64_e64 s[20:21], 0, v[98:99]
	v_cmp_le_f64_e64 s[22:23], 0, v[122:123]
	s_and_b64 s[22:23], s[20:21], s[22:23]
	v_cmp_le_f64_e64 s[20:21], 0, v[54:55]
	s_and_b64 s[22:23], s[20:21], s[22:23]
	v_cmp_gt_f64_e64 s[20:21], 1.0, v[98:99]
	s_and_b64 s[22:23], s[20:21], s[22:23]
	v_cmp_gt_f64_e64 s[20:21], 1.0, v[122:123]
	;; [unrolled: 2-line block ×3, first 2 shown]
	s_and_b64 s[22:23], s[20:21], s[22:23]
	v_cmp_le_f64_e64 s[20:21], 0, v[96:97]
	s_and_b64 s[22:23], s[20:21], s[22:23]
	v_cmp_le_f64_e64 s[20:21], 0, v[120:121]
	;; [unrolled: 2-line block ×3, first 2 shown]
	s_and_b64 s[22:23], s[22:23], s[20:21]
	v_cmp_gt_f64_e64 s[20:21], 1.0, v[96:97]
	s_and_b64 s[22:23], s[20:21], s[22:23]
	v_cmp_gt_f64_e64 s[20:21], 1.0, v[120:121]
	;; [unrolled: 2-line block ×3, first 2 shown]
	s_and_b64 s[20:21], s[22:23], s[20:21]
	v_mov_b32_e32 v1, 8
	s_and_saveexec_b64 s[26:27], s[20:21]
	s_cbranch_execz .LBB0_120
; %bb.117:
	v_cmp_nge_f64_e64 s[20:21], v[94:95], v[36:37]
	v_cmp_nge_f64_e64 s[22:23], v[118:119], v[36:37]
	s_or_b64 s[22:23], s[20:21], s[22:23]
	v_cmp_nge_f64_e64 s[20:21], v[46:47], v[36:37]
	s_or_b64 s[20:21], s[22:23], s[20:21]
	v_mov_b32_e32 v1, 4
	s_and_saveexec_b64 s[28:29], s[20:21]
	s_cbranch_execz .LBB0_119
; %bb.118:
	v_cmp_le_f64_e64 s[20:21], 0, v[94:95]
	v_cmp_le_f64_e64 s[22:23], 0, v[118:119]
	s_and_b64 s[22:23], s[20:21], s[22:23]
	v_cmp_le_f64_e64 s[20:21], 0, v[46:47]
	s_and_b64 s[22:23], s[22:23], s[20:21]
	v_cmp_lt_f64_e64 s[20:21], v[94:95], v[36:37]
	s_and_b64 s[22:23], s[20:21], s[22:23]
	v_cmp_lt_f64_e64 s[20:21], v[118:119], v[36:37]
	;; [unrolled: 2-line block ×3, first 2 shown]
	v_mov_b32_e32 v1, 0
	v_mov_b32_e32 v118, 8
	s_and_b64 s[20:21], s[22:23], s[20:21]
	v_cndmask_b32_e64 v1, v118, v1, s[20:21]
.LBB0_119:
	s_or_b64 exec, exec, s[28:29]
.LBB0_120:
	s_or_b64 exec, exec, s[26:27]
	buffer_load_dword v118, v1, s[0:3], 0 offen
	s_waitcnt vmcnt(0)
	v_or_b32_e32 v118, 0x800, v118
	buffer_store_dword v118, v1, s[0:3], 0 offen
.LBB0_121:
	s_or_b64 exec, exec, s[24:25]
	v_add_f64 v[118:119], v[64:65], v[116:117]
	v_add_f64 v[118:119], v[92:93], v[118:119]
	s_mov_b32 s20, 0
	v_add_f64 v[118:119], v[20:21], v[118:119]
	s_mov_b32 s21, 0x3fd00000
	v_fma_f64 v[118:119], v[118:119], s[20:21], -v[2:3]
	v_mul_f64 v[122:123], v[34:35], v[118:119]
	v_add_f64 v[118:119], v[76:77], v[104:105]
	v_add_f64 v[118:119], v[84:85], v[118:119]
	;; [unrolled: 1-line block ×3, first 2 shown]
	v_fma_f64 v[118:119], v[118:119], s[20:21], -v[10:11]
	v_mul_f64 v[120:121], v[8:9], v[118:119]
	v_add_f64 v[118:119], v[72:73], v[112:113]
	v_add_f64 v[118:119], v[88:89], v[118:119]
	v_add_f64 v[118:119], v[14:15], v[118:119]
	v_fma_f64 v[118:119], v[118:119], s[20:21], -v[6:7]
	v_cmp_gt_f64_e64 s[20:21], 0, v[122:123]
	s_and_b64 s[22:23], s[10:11], s[20:21]
	s_and_b64 s[22:23], s[22:23], s[18:19]
	s_xor_b64 s[22:23], s[22:23], -1
	s_and_saveexec_b64 s[26:27], s[22:23]
	s_cbranch_execz .LBB0_131
; %bb.122:
	v_cmp_nle_f64_e64 s[22:23], 1.0, v[56:57]
	v_cmp_nle_f64_e64 s[24:25], 1.0, v[122:123]
	s_or_b64 s[24:25], s[22:23], s[24:25]
	v_cmp_nle_f64_e64 s[22:23], 1.0, v[110:111]
	s_or_b64 s[22:23], s[24:25], s[22:23]
	s_and_b64 exec, exec, s[22:23]
	s_cbranch_execz .LBB0_131
; %bb.123:
	v_cmp_ngt_f64_e64 s[22:23], 0, v[52:53]
	v_cmp_ngt_f64_e64 s[24:25], 0, v[120:121]
	s_or_b64 s[24:25], s[22:23], s[24:25]
	v_cmp_ngt_f64_e64 s[22:23], 0, v[108:109]
	s_or_b64 s[22:23], s[24:25], s[22:23]
	s_and_b64 exec, exec, s[22:23]
	s_cbranch_execz .LBB0_131
; %bb.124:
	v_cmp_nle_f64_e64 s[22:23], 1.0, v[52:53]
	v_cmp_nle_f64_e64 s[24:25], 1.0, v[120:121]
	s_or_b64 s[24:25], s[22:23], s[24:25]
	v_cmp_nle_f64_e64 s[22:23], 1.0, v[108:109]
	s_or_b64 s[22:23], s[24:25], s[22:23]
	s_and_b64 exec, exec, s[22:23]
	s_cbranch_execz .LBB0_131
; %bb.125:
	v_cmp_ngt_f64_e64 s[22:23], 0, v[48:49]
	v_cmp_ngt_f64_e64 s[24:25], 0, v[118:119]
	s_or_b64 s[24:25], s[22:23], s[24:25]
	v_cmp_ngt_f64_e64 s[22:23], 0, v[102:103]
	s_or_b64 s[22:23], s[24:25], s[22:23]
	s_and_b64 exec, exec, s[22:23]
	s_cbranch_execz .LBB0_131
; %bb.126:
	v_cmp_le_f64_e64 s[22:23], 0, v[56:57]
	v_cmp_le_f64_e64 s[24:25], 0, v[122:123]
	s_and_b64 s[24:25], s[22:23], s[24:25]
	v_cmp_le_f64_e64 s[22:23], 0, v[110:111]
	s_and_b64 s[24:25], s[24:25], s[22:23]
	v_cmp_gt_f64_e64 s[22:23], 1.0, v[56:57]
	s_and_b64 s[24:25], s[22:23], s[24:25]
	v_cmp_gt_f64_e64 s[22:23], 1.0, v[122:123]
	;; [unrolled: 2-line block ×3, first 2 shown]
	s_and_b64 s[24:25], s[24:25], s[22:23]
	v_cmp_le_f64_e64 s[22:23], 0, v[52:53]
	s_and_b64 s[24:25], s[22:23], s[24:25]
	v_cmp_le_f64_e64 s[22:23], 0, v[120:121]
	;; [unrolled: 2-line block ×3, first 2 shown]
	s_and_b64 s[24:25], s[24:25], s[22:23]
	v_cmp_gt_f64_e64 s[22:23], 1.0, v[52:53]
	s_and_b64 s[24:25], s[22:23], s[24:25]
	v_cmp_gt_f64_e64 s[22:23], 1.0, v[120:121]
	;; [unrolled: 2-line block ×3, first 2 shown]
	s_and_b64 s[22:23], s[24:25], s[22:23]
	v_mov_b32_e32 v1, 8
	s_and_saveexec_b64 s[28:29], s[22:23]
	s_cbranch_execz .LBB0_130
; %bb.127:
	v_cmp_nge_f64_e64 s[22:23], v[48:49], v[36:37]
	v_cmp_nge_f64_e64 s[24:25], v[118:119], v[36:37]
	s_or_b64 s[24:25], s[22:23], s[24:25]
	v_cmp_nge_f64_e64 s[22:23], v[102:103], v[36:37]
	s_or_b64 s[22:23], s[24:25], s[22:23]
	v_mov_b32_e32 v1, 4
	s_and_saveexec_b64 s[30:31], s[22:23]
	s_cbranch_execz .LBB0_129
; %bb.128:
	v_cmp_le_f64_e64 s[22:23], 0, v[48:49]
	v_cmp_le_f64_e64 s[24:25], 0, v[118:119]
	s_and_b64 s[24:25], s[22:23], s[24:25]
	v_cmp_le_f64_e64 s[22:23], 0, v[102:103]
	s_and_b64 s[24:25], s[24:25], s[22:23]
	v_cmp_lt_f64_e64 s[22:23], v[48:49], v[36:37]
	s_and_b64 s[24:25], s[22:23], s[24:25]
	v_cmp_lt_f64_e64 s[22:23], v[118:119], v[36:37]
	;; [unrolled: 2-line block ×3, first 2 shown]
	v_mov_b32_e32 v1, 0
	v_mov_b32_e32 v124, 8
	s_and_b64 s[22:23], s[24:25], s[22:23]
	v_cndmask_b32_e64 v1, v124, v1, s[22:23]
.LBB0_129:
	s_or_b64 exec, exec, s[30:31]
.LBB0_130:
	s_or_b64 exec, exec, s[28:29]
	buffer_load_dword v124, v1, s[0:3], 0 offen
	s_waitcnt vmcnt(0)
	v_or_b32_e32 v124, 0x1000, v124
	buffer_store_dword v124, v1, s[0:3], 0 offen
.LBB0_131:
	s_or_b64 exec, exec, s[26:27]
	s_and_b64 s[22:23], s[18:19], s[20:21]
	s_and_b64 s[22:23], s[22:23], s[14:15]
	s_xor_b64 s[22:23], s[22:23], -1
	s_and_saveexec_b64 s[26:27], s[22:23]
	s_cbranch_execz .LBB0_141
; %bb.132:
	v_cmp_nle_f64_e64 s[22:23], 1.0, v[110:111]
	v_cmp_nle_f64_e64 s[24:25], 1.0, v[122:123]
	s_or_b64 s[24:25], s[22:23], s[24:25]
	v_cmp_nle_f64_e64 s[22:23], 1.0, v[80:81]
	s_or_b64 s[22:23], s[24:25], s[22:23]
	s_and_b64 exec, exec, s[22:23]
	s_cbranch_execz .LBB0_141
; %bb.133:
	v_cmp_ngt_f64_e64 s[22:23], 0, v[108:109]
	v_cmp_ngt_f64_e64 s[24:25], 0, v[120:121]
	s_or_b64 s[24:25], s[22:23], s[24:25]
	v_cmp_ngt_f64_e64 s[22:23], 0, v[78:79]
	s_or_b64 s[22:23], s[24:25], s[22:23]
	s_and_b64 exec, exec, s[22:23]
	s_cbranch_execz .LBB0_141
; %bb.134:
	v_cmp_nle_f64_e64 s[22:23], 1.0, v[108:109]
	v_cmp_nle_f64_e64 s[24:25], 1.0, v[120:121]
	s_or_b64 s[24:25], s[22:23], s[24:25]
	v_cmp_nle_f64_e64 s[22:23], 1.0, v[78:79]
	s_or_b64 s[22:23], s[24:25], s[22:23]
	s_and_b64 exec, exec, s[22:23]
	s_cbranch_execz .LBB0_141
; %bb.135:
	v_cmp_ngt_f64_e64 s[22:23], 0, v[102:103]
	v_cmp_ngt_f64_e64 s[24:25], 0, v[118:119]
	s_or_b64 s[24:25], s[22:23], s[24:25]
	v_cmp_ngt_f64_e64 s[22:23], 0, v[70:71]
	s_or_b64 s[22:23], s[24:25], s[22:23]
	s_and_b64 exec, exec, s[22:23]
	s_cbranch_execz .LBB0_141
; %bb.136:
	v_cmp_le_f64_e64 s[22:23], 0, v[110:111]
	v_cmp_le_f64_e64 s[24:25], 0, v[122:123]
	s_and_b64 s[24:25], s[22:23], s[24:25]
	v_cmp_le_f64_e64 s[22:23], 0, v[80:81]
	s_and_b64 s[24:25], s[24:25], s[22:23]
	v_cmp_gt_f64_e64 s[22:23], 1.0, v[110:111]
	s_and_b64 s[24:25], s[22:23], s[24:25]
	v_cmp_gt_f64_e64 s[22:23], 1.0, v[122:123]
	;; [unrolled: 2-line block ×3, first 2 shown]
	s_and_b64 s[24:25], s[24:25], s[22:23]
	v_cmp_le_f64_e64 s[22:23], 0, v[108:109]
	s_and_b64 s[24:25], s[22:23], s[24:25]
	v_cmp_le_f64_e64 s[22:23], 0, v[120:121]
	;; [unrolled: 2-line block ×3, first 2 shown]
	s_and_b64 s[24:25], s[24:25], s[22:23]
	v_cmp_gt_f64_e64 s[22:23], 1.0, v[108:109]
	s_and_b64 s[24:25], s[22:23], s[24:25]
	v_cmp_gt_f64_e64 s[22:23], 1.0, v[120:121]
	;; [unrolled: 2-line block ×3, first 2 shown]
	s_and_b64 s[22:23], s[24:25], s[22:23]
	v_mov_b32_e32 v1, 8
	s_and_saveexec_b64 s[28:29], s[22:23]
	s_cbranch_execz .LBB0_140
; %bb.137:
	v_cmp_nge_f64_e64 s[22:23], v[102:103], v[36:37]
	v_cmp_nge_f64_e64 s[24:25], v[118:119], v[36:37]
	s_or_b64 s[24:25], s[22:23], s[24:25]
	v_cmp_nge_f64_e64 s[22:23], v[70:71], v[36:37]
	s_or_b64 s[22:23], s[24:25], s[22:23]
	v_mov_b32_e32 v1, 4
	s_and_saveexec_b64 s[30:31], s[22:23]
	s_cbranch_execz .LBB0_139
; %bb.138:
	v_cmp_le_f64_e64 s[22:23], 0, v[102:103]
	v_cmp_le_f64_e64 s[24:25], 0, v[118:119]
	s_and_b64 s[24:25], s[22:23], s[24:25]
	v_cmp_le_f64_e64 s[22:23], 0, v[70:71]
	s_and_b64 s[24:25], s[24:25], s[22:23]
	v_cmp_lt_f64_e64 s[22:23], v[102:103], v[36:37]
	s_and_b64 s[24:25], s[22:23], s[24:25]
	v_cmp_lt_f64_e64 s[22:23], v[118:119], v[36:37]
	;; [unrolled: 2-line block ×3, first 2 shown]
	v_mov_b32_e32 v1, 0
	v_mov_b32_e32 v124, 8
	s_and_b64 s[22:23], s[24:25], s[22:23]
	v_cndmask_b32_e64 v1, v124, v1, s[22:23]
.LBB0_139:
	s_or_b64 exec, exec, s[30:31]
.LBB0_140:
	s_or_b64 exec, exec, s[28:29]
	buffer_load_dword v124, v1, s[0:3], 0 offen
	s_waitcnt vmcnt(0)
	v_or_b32_e32 v124, 0x2000, v124
	buffer_store_dword v124, v1, s[0:3], 0 offen
.LBB0_141:
	s_or_b64 exec, exec, s[26:27]
	s_and_b64 s[22:23], s[14:15], s[20:21]
	s_and_b64 s[22:23], s[22:23], s[6:7]
	s_xor_b64 s[22:23], s[22:23], -1
	s_and_saveexec_b64 s[26:27], s[22:23]
	s_cbranch_execz .LBB0_151
; %bb.142:
	v_cmp_nle_f64_e64 s[22:23], 1.0, v[80:81]
	v_cmp_nle_f64_e64 s[24:25], 1.0, v[122:123]
	s_or_b64 s[24:25], s[22:23], s[24:25]
	v_cmp_nle_f64_e64 s[22:23], 1.0, v[44:45]
	s_or_b64 s[22:23], s[24:25], s[22:23]
	s_and_b64 exec, exec, s[22:23]
	s_cbranch_execz .LBB0_151
; %bb.143:
	v_cmp_ngt_f64_e64 s[22:23], 0, v[78:79]
	v_cmp_ngt_f64_e64 s[24:25], 0, v[120:121]
	s_or_b64 s[24:25], s[22:23], s[24:25]
	v_cmp_ngt_f64_e64 s[22:23], 0, v[42:43]
	s_or_b64 s[22:23], s[24:25], s[22:23]
	s_and_b64 exec, exec, s[22:23]
	s_cbranch_execz .LBB0_151
; %bb.144:
	v_cmp_nle_f64_e64 s[22:23], 1.0, v[78:79]
	v_cmp_nle_f64_e64 s[24:25], 1.0, v[120:121]
	s_or_b64 s[24:25], s[22:23], s[24:25]
	v_cmp_nle_f64_e64 s[22:23], 1.0, v[42:43]
	s_or_b64 s[22:23], s[24:25], s[22:23]
	s_and_b64 exec, exec, s[22:23]
	s_cbranch_execz .LBB0_151
; %bb.145:
	v_cmp_ngt_f64_e64 s[22:23], 0, v[70:71]
	v_cmp_ngt_f64_e64 s[24:25], 0, v[118:119]
	s_or_b64 s[24:25], s[22:23], s[24:25]
	v_cmp_ngt_f64_e64 s[22:23], 0, v[30:31]
	s_or_b64 s[22:23], s[24:25], s[22:23]
	s_and_b64 exec, exec, s[22:23]
	s_cbranch_execz .LBB0_151
; %bb.146:
	v_cmp_le_f64_e64 s[22:23], 0, v[80:81]
	v_cmp_le_f64_e64 s[24:25], 0, v[122:123]
	s_and_b64 s[24:25], s[22:23], s[24:25]
	v_cmp_le_f64_e64 s[22:23], 0, v[44:45]
	s_and_b64 s[24:25], s[24:25], s[22:23]
	v_cmp_gt_f64_e64 s[22:23], 1.0, v[80:81]
	s_and_b64 s[24:25], s[22:23], s[24:25]
	v_cmp_gt_f64_e64 s[22:23], 1.0, v[122:123]
	;; [unrolled: 2-line block ×3, first 2 shown]
	s_and_b64 s[24:25], s[24:25], s[22:23]
	v_cmp_le_f64_e64 s[22:23], 0, v[78:79]
	s_and_b64 s[24:25], s[22:23], s[24:25]
	v_cmp_le_f64_e64 s[22:23], 0, v[120:121]
	;; [unrolled: 2-line block ×3, first 2 shown]
	s_and_b64 s[24:25], s[24:25], s[22:23]
	v_cmp_gt_f64_e64 s[22:23], 1.0, v[78:79]
	s_and_b64 s[24:25], s[22:23], s[24:25]
	v_cmp_gt_f64_e64 s[22:23], 1.0, v[120:121]
	;; [unrolled: 2-line block ×3, first 2 shown]
	s_and_b64 s[22:23], s[24:25], s[22:23]
	v_mov_b32_e32 v1, 8
	s_and_saveexec_b64 s[28:29], s[22:23]
	s_cbranch_execz .LBB0_150
; %bb.147:
	v_cmp_nge_f64_e64 s[22:23], v[70:71], v[36:37]
	v_cmp_nge_f64_e64 s[24:25], v[118:119], v[36:37]
	s_or_b64 s[24:25], s[22:23], s[24:25]
	v_cmp_nge_f64_e64 s[22:23], v[30:31], v[36:37]
	s_or_b64 s[22:23], s[24:25], s[22:23]
	v_mov_b32_e32 v1, 4
	s_and_saveexec_b64 s[30:31], s[22:23]
	s_cbranch_execz .LBB0_149
; %bb.148:
	v_cmp_le_f64_e64 s[22:23], 0, v[70:71]
	v_cmp_le_f64_e64 s[24:25], 0, v[118:119]
	s_and_b64 s[24:25], s[22:23], s[24:25]
	v_cmp_le_f64_e64 s[22:23], 0, v[30:31]
	s_and_b64 s[24:25], s[24:25], s[22:23]
	v_cmp_lt_f64_e64 s[22:23], v[70:71], v[36:37]
	s_and_b64 s[24:25], s[22:23], s[24:25]
	v_cmp_lt_f64_e64 s[22:23], v[118:119], v[36:37]
	s_and_b64 s[24:25], s[24:25], s[22:23]
	v_cmp_lt_f64_e64 s[22:23], v[30:31], v[36:37]
	v_mov_b32_e32 v1, 0
	v_mov_b32_e32 v124, 8
	s_and_b64 s[22:23], s[24:25], s[22:23]
	v_cndmask_b32_e64 v1, v124, v1, s[22:23]
.LBB0_149:
	s_or_b64 exec, exec, s[30:31]
.LBB0_150:
	s_or_b64 exec, exec, s[28:29]
	buffer_load_dword v124, v1, s[0:3], 0 offen
	s_waitcnt vmcnt(0)
	v_or_b32_e32 v124, 0x4000, v124
	buffer_store_dword v124, v1, s[0:3], 0 offen
.LBB0_151:
	s_or_b64 exec, exec, s[26:27]
	s_and_b64 s[20:21], s[6:7], s[20:21]
	s_and_b64 s[20:21], s[20:21], s[10:11]
	s_xor_b64 s[20:21], s[20:21], -1
	s_and_saveexec_b64 s[24:25], s[20:21]
	s_cbranch_execz .LBB0_161
; %bb.152:
	v_cmp_nle_f64_e64 s[20:21], 1.0, v[44:45]
	v_cmp_nle_f64_e64 s[22:23], 1.0, v[122:123]
	s_or_b64 s[22:23], s[20:21], s[22:23]
	v_cmp_nle_f64_e64 s[20:21], 1.0, v[56:57]
	s_or_b64 s[20:21], s[22:23], s[20:21]
	s_and_b64 exec, exec, s[20:21]
	s_cbranch_execz .LBB0_161
; %bb.153:
	v_cmp_ngt_f64_e64 s[20:21], 0, v[42:43]
	v_cmp_ngt_f64_e64 s[22:23], 0, v[120:121]
	s_or_b64 s[22:23], s[20:21], s[22:23]
	v_cmp_ngt_f64_e64 s[20:21], 0, v[52:53]
	s_or_b64 s[20:21], s[22:23], s[20:21]
	s_and_b64 exec, exec, s[20:21]
	s_cbranch_execz .LBB0_161
; %bb.154:
	v_cmp_nle_f64_e64 s[20:21], 1.0, v[42:43]
	v_cmp_nle_f64_e64 s[22:23], 1.0, v[120:121]
	s_or_b64 s[22:23], s[20:21], s[22:23]
	v_cmp_nle_f64_e64 s[20:21], 1.0, v[52:53]
	s_or_b64 s[20:21], s[22:23], s[20:21]
	s_and_b64 exec, exec, s[20:21]
	s_cbranch_execz .LBB0_161
; %bb.155:
	v_cmp_ngt_f64_e64 s[20:21], 0, v[30:31]
	v_cmp_ngt_f64_e64 s[22:23], 0, v[118:119]
	s_or_b64 s[22:23], s[20:21], s[22:23]
	v_cmp_ngt_f64_e64 s[20:21], 0, v[48:49]
	s_or_b64 s[20:21], s[22:23], s[20:21]
	s_and_b64 exec, exec, s[20:21]
	s_cbranch_execz .LBB0_161
; %bb.156:
	v_cmp_le_f64_e64 s[20:21], 0, v[44:45]
	v_cmp_le_f64_e64 s[22:23], 0, v[122:123]
	s_and_b64 s[22:23], s[20:21], s[22:23]
	v_cmp_le_f64_e64 s[20:21], 0, v[56:57]
	s_and_b64 s[22:23], s[22:23], s[20:21]
	v_cmp_gt_f64_e64 s[20:21], 1.0, v[44:45]
	s_and_b64 s[22:23], s[20:21], s[22:23]
	v_cmp_gt_f64_e64 s[20:21], 1.0, v[122:123]
	;; [unrolled: 2-line block ×3, first 2 shown]
	s_and_b64 s[22:23], s[22:23], s[20:21]
	v_cmp_le_f64_e64 s[20:21], 0, v[42:43]
	s_and_b64 s[22:23], s[20:21], s[22:23]
	v_cmp_le_f64_e64 s[20:21], 0, v[120:121]
	;; [unrolled: 2-line block ×3, first 2 shown]
	s_and_b64 s[22:23], s[22:23], s[20:21]
	v_cmp_gt_f64_e64 s[20:21], 1.0, v[42:43]
	s_and_b64 s[22:23], s[20:21], s[22:23]
	v_cmp_gt_f64_e64 s[20:21], 1.0, v[120:121]
	;; [unrolled: 2-line block ×3, first 2 shown]
	s_and_b64 s[20:21], s[22:23], s[20:21]
	v_mov_b32_e32 v1, 8
	s_and_saveexec_b64 s[26:27], s[20:21]
	s_cbranch_execz .LBB0_160
; %bb.157:
	v_cmp_nge_f64_e64 s[20:21], v[30:31], v[36:37]
	v_cmp_nge_f64_e64 s[22:23], v[118:119], v[36:37]
	s_or_b64 s[22:23], s[20:21], s[22:23]
	v_cmp_nge_f64_e64 s[20:21], v[48:49], v[36:37]
	s_or_b64 s[20:21], s[22:23], s[20:21]
	v_mov_b32_e32 v1, 4
	s_and_saveexec_b64 s[28:29], s[20:21]
	s_cbranch_execz .LBB0_159
; %bb.158:
	v_cmp_le_f64_e64 s[20:21], 0, v[30:31]
	v_cmp_le_f64_e64 s[22:23], 0, v[118:119]
	s_and_b64 s[22:23], s[20:21], s[22:23]
	v_cmp_le_f64_e64 s[20:21], 0, v[48:49]
	s_and_b64 s[22:23], s[22:23], s[20:21]
	v_cmp_lt_f64_e64 s[20:21], v[30:31], v[36:37]
	s_and_b64 s[22:23], s[20:21], s[22:23]
	v_cmp_lt_f64_e64 s[20:21], v[118:119], v[36:37]
	;; [unrolled: 2-line block ×3, first 2 shown]
	v_mov_b32_e32 v1, 0
	v_mov_b32_e32 v118, 8
	s_and_b64 s[20:21], s[22:23], s[20:21]
	v_cndmask_b32_e64 v1, v118, v1, s[20:21]
.LBB0_159:
	s_or_b64 exec, exec, s[28:29]
.LBB0_160:
	s_or_b64 exec, exec, s[26:27]
	buffer_load_dword v118, v1, s[0:3], 0 offen
	s_waitcnt vmcnt(0)
	v_or_b32_e32 v118, 0x8000, v118
	buffer_store_dword v118, v1, s[0:3], 0 offen
.LBB0_161:
	s_or_b64 exec, exec, s[24:25]
	v_add_f64 v[66:67], v[66:67], v[100:101]
	v_add_f64 v[66:67], v[66:67], v[116:117]
	s_mov_b32 s20, 0
	v_add_f64 v[64:65], v[64:65], v[66:67]
	s_mov_b32 s21, 0x3fd00000
	v_fma_f64 v[64:65], v[64:65], s[20:21], -v[2:3]
	v_mul_f64 v[100:101], v[34:35], v[64:65]
	v_add_f64 v[64:65], v[68:69], v[106:107]
	v_add_f64 v[64:65], v[64:65], v[104:105]
	;; [unrolled: 1-line block ×3, first 2 shown]
	v_fma_f64 v[64:65], v[64:65], s[20:21], -v[10:11]
	v_mul_f64 v[66:67], v[8:9], v[64:65]
	v_add_f64 v[64:65], v[74:75], v[114:115]
	v_add_f64 v[64:65], v[64:65], v[112:113]
	;; [unrolled: 1-line block ×3, first 2 shown]
	v_fma_f64 v[64:65], v[64:65], s[20:21], -v[6:7]
	v_cmp_gt_f64_e64 s[20:21], 0, v[100:101]
	s_and_b64 s[22:23], s[8:9], s[20:21]
	s_and_b64 s[22:23], s[16:17], s[22:23]
	s_xor_b64 s[22:23], s[22:23], -1
	s_and_saveexec_b64 s[26:27], s[22:23]
	s_cbranch_execz .LBB0_171
; %bb.162:
	v_cmp_nle_f64_e64 s[22:23], 1.0, v[54:55]
	v_cmp_nle_f64_e64 s[24:25], 1.0, v[100:101]
	s_or_b64 s[24:25], s[22:23], s[24:25]
	v_cmp_nle_f64_e64 s[22:23], 1.0, v[98:99]
	s_or_b64 s[22:23], s[22:23], s[24:25]
	s_and_b64 exec, exec, s[22:23]
	s_cbranch_execz .LBB0_171
; %bb.163:
	v_cmp_ngt_f64_e64 s[22:23], 0, v[50:51]
	v_cmp_ngt_f64_e64 s[24:25], 0, v[66:67]
	s_or_b64 s[24:25], s[22:23], s[24:25]
	v_cmp_ngt_f64_e64 s[22:23], 0, v[96:97]
	s_or_b64 s[22:23], s[24:25], s[22:23]
	s_and_b64 exec, exec, s[22:23]
	s_cbranch_execz .LBB0_171
; %bb.164:
	v_cmp_nle_f64_e64 s[22:23], 1.0, v[50:51]
	v_cmp_nle_f64_e64 s[24:25], 1.0, v[66:67]
	s_or_b64 s[24:25], s[22:23], s[24:25]
	v_cmp_nle_f64_e64 s[22:23], 1.0, v[96:97]
	s_or_b64 s[22:23], s[24:25], s[22:23]
	s_and_b64 exec, exec, s[22:23]
	s_cbranch_execz .LBB0_171
; %bb.165:
	v_cmp_ngt_f64_e64 s[22:23], 0, v[46:47]
	v_cmp_ngt_f64_e64 s[24:25], 0, v[64:65]
	s_or_b64 s[24:25], s[22:23], s[24:25]
	v_cmp_ngt_f64_e64 s[22:23], 0, v[94:95]
	s_or_b64 s[22:23], s[24:25], s[22:23]
	s_and_b64 exec, exec, s[22:23]
	s_cbranch_execz .LBB0_171
; %bb.166:
	v_cmp_le_f64_e64 s[22:23], 0, v[54:55]
	v_cmp_le_f64_e64 s[24:25], 0, v[100:101]
	s_and_b64 s[24:25], s[22:23], s[24:25]
	v_cmp_le_f64_e64 s[22:23], 0, v[98:99]
	s_and_b64 s[24:25], s[22:23], s[24:25]
	v_cmp_gt_f64_e64 s[22:23], 1.0, v[54:55]
	s_and_b64 s[24:25], s[22:23], s[24:25]
	v_cmp_gt_f64_e64 s[22:23], 1.0, v[100:101]
	;; [unrolled: 2-line block ×3, first 2 shown]
	s_and_b64 s[24:25], s[22:23], s[24:25]
	v_cmp_le_f64_e64 s[22:23], 0, v[50:51]
	s_and_b64 s[24:25], s[22:23], s[24:25]
	v_cmp_le_f64_e64 s[22:23], 0, v[66:67]
	;; [unrolled: 2-line block ×3, first 2 shown]
	s_and_b64 s[24:25], s[24:25], s[22:23]
	v_cmp_gt_f64_e64 s[22:23], 1.0, v[50:51]
	s_and_b64 s[24:25], s[22:23], s[24:25]
	v_cmp_gt_f64_e64 s[22:23], 1.0, v[66:67]
	s_and_b64 s[24:25], s[24:25], s[22:23]
	v_cmp_gt_f64_e64 s[22:23], 1.0, v[96:97]
	s_and_b64 s[22:23], s[24:25], s[22:23]
	v_mov_b32_e32 v1, 8
	s_and_saveexec_b64 s[28:29], s[22:23]
	s_cbranch_execz .LBB0_170
; %bb.167:
	v_cmp_nge_f64_e64 s[22:23], v[46:47], v[36:37]
	v_cmp_nge_f64_e64 s[24:25], v[64:65], v[36:37]
	s_or_b64 s[24:25], s[22:23], s[24:25]
	v_cmp_nge_f64_e64 s[22:23], v[94:95], v[36:37]
	s_or_b64 s[22:23], s[24:25], s[22:23]
	v_mov_b32_e32 v1, 4
	s_and_saveexec_b64 s[30:31], s[22:23]
	s_cbranch_execz .LBB0_169
; %bb.168:
	v_cmp_le_f64_e64 s[22:23], 0, v[46:47]
	v_cmp_le_f64_e64 s[24:25], 0, v[64:65]
	s_and_b64 s[24:25], s[22:23], s[24:25]
	v_cmp_le_f64_e64 s[22:23], 0, v[94:95]
	s_and_b64 s[24:25], s[24:25], s[22:23]
	v_cmp_lt_f64_e64 s[22:23], v[46:47], v[36:37]
	s_and_b64 s[24:25], s[22:23], s[24:25]
	v_cmp_lt_f64_e64 s[22:23], v[64:65], v[36:37]
	;; [unrolled: 2-line block ×3, first 2 shown]
	v_mov_b32_e32 v1, 0
	v_mov_b32_e32 v68, 8
	s_and_b64 s[22:23], s[24:25], s[22:23]
	v_cndmask_b32_e64 v1, v68, v1, s[22:23]
.LBB0_169:
	s_or_b64 exec, exec, s[30:31]
.LBB0_170:
	s_or_b64 exec, exec, s[28:29]
	buffer_load_dword v68, v1, s[0:3], 0 offen
	s_waitcnt vmcnt(0)
	v_or_b32_e32 v68, 0x10000, v68
	buffer_store_dword v68, v1, s[0:3], 0 offen
.LBB0_171:
	s_or_b64 exec, exec, s[26:27]
	s_and_b64 s[16:17], s[16:17], s[20:21]
	s_and_b64 s[16:17], s[16:17], s[18:19]
	s_xor_b64 s[16:17], s[16:17], -1
	s_and_saveexec_b64 s[24:25], s[16:17]
	s_cbranch_execz .LBB0_181
; %bb.172:
	v_cmp_nle_f64_e64 s[16:17], 1.0, v[98:99]
	v_cmp_nle_f64_e64 s[22:23], 1.0, v[100:101]
	s_or_b64 s[22:23], s[16:17], s[22:23]
	v_cmp_nle_f64_e64 s[16:17], 1.0, v[110:111]
	s_or_b64 s[16:17], s[22:23], s[16:17]
	s_and_b64 exec, exec, s[16:17]
	s_cbranch_execz .LBB0_181
; %bb.173:
	v_cmp_ngt_f64_e64 s[16:17], 0, v[96:97]
	v_cmp_ngt_f64_e64 s[22:23], 0, v[66:67]
	s_or_b64 s[22:23], s[16:17], s[22:23]
	v_cmp_ngt_f64_e64 s[16:17], 0, v[108:109]
	s_or_b64 s[16:17], s[22:23], s[16:17]
	s_and_b64 exec, exec, s[16:17]
	s_cbranch_execz .LBB0_181
; %bb.174:
	v_cmp_nle_f64_e64 s[16:17], 1.0, v[96:97]
	v_cmp_nle_f64_e64 s[22:23], 1.0, v[66:67]
	s_or_b64 s[22:23], s[16:17], s[22:23]
	v_cmp_nle_f64_e64 s[16:17], 1.0, v[108:109]
	s_or_b64 s[16:17], s[22:23], s[16:17]
	s_and_b64 exec, exec, s[16:17]
	s_cbranch_execz .LBB0_181
; %bb.175:
	v_cmp_ngt_f64_e64 s[16:17], 0, v[94:95]
	v_cmp_ngt_f64_e64 s[22:23], 0, v[64:65]
	s_or_b64 s[22:23], s[16:17], s[22:23]
	v_cmp_ngt_f64_e64 s[16:17], 0, v[102:103]
	s_or_b64 s[16:17], s[22:23], s[16:17]
	s_and_b64 exec, exec, s[16:17]
	s_cbranch_execz .LBB0_181
; %bb.176:
	v_cmp_le_f64_e64 s[16:17], 0, v[98:99]
	v_cmp_le_f64_e64 s[22:23], 0, v[100:101]
	s_and_b64 s[22:23], s[16:17], s[22:23]
	v_cmp_le_f64_e64 s[16:17], 0, v[110:111]
	s_and_b64 s[22:23], s[22:23], s[16:17]
	v_cmp_gt_f64_e64 s[16:17], 1.0, v[98:99]
	s_and_b64 s[22:23], s[16:17], s[22:23]
	v_cmp_gt_f64_e64 s[16:17], 1.0, v[100:101]
	;; [unrolled: 2-line block ×3, first 2 shown]
	s_and_b64 s[22:23], s[22:23], s[16:17]
	v_cmp_le_f64_e64 s[16:17], 0, v[96:97]
	s_and_b64 s[22:23], s[16:17], s[22:23]
	v_cmp_le_f64_e64 s[16:17], 0, v[66:67]
	;; [unrolled: 2-line block ×3, first 2 shown]
	s_and_b64 s[22:23], s[22:23], s[16:17]
	v_cmp_gt_f64_e64 s[16:17], 1.0, v[96:97]
	s_and_b64 s[22:23], s[16:17], s[22:23]
	v_cmp_gt_f64_e64 s[16:17], 1.0, v[66:67]
	;; [unrolled: 2-line block ×3, first 2 shown]
	s_and_b64 s[16:17], s[22:23], s[16:17]
	v_mov_b32_e32 v1, 8
	s_and_saveexec_b64 s[26:27], s[16:17]
	s_cbranch_execz .LBB0_180
; %bb.177:
	v_cmp_nge_f64_e64 s[16:17], v[94:95], v[36:37]
	v_cmp_nge_f64_e64 s[22:23], v[64:65], v[36:37]
	s_or_b64 s[22:23], s[16:17], s[22:23]
	v_cmp_nge_f64_e64 s[16:17], v[102:103], v[36:37]
	s_or_b64 s[16:17], s[22:23], s[16:17]
	v_mov_b32_e32 v1, 4
	s_and_saveexec_b64 s[28:29], s[16:17]
	s_cbranch_execz .LBB0_179
; %bb.178:
	v_cmp_le_f64_e64 s[16:17], 0, v[94:95]
	v_cmp_le_f64_e64 s[22:23], 0, v[64:65]
	s_and_b64 s[22:23], s[16:17], s[22:23]
	v_cmp_le_f64_e64 s[16:17], 0, v[102:103]
	s_and_b64 s[22:23], s[22:23], s[16:17]
	v_cmp_lt_f64_e64 s[16:17], v[94:95], v[36:37]
	s_and_b64 s[22:23], s[16:17], s[22:23]
	v_cmp_lt_f64_e64 s[16:17], v[64:65], v[36:37]
	;; [unrolled: 2-line block ×3, first 2 shown]
	v_mov_b32_e32 v1, 0
	v_mov_b32_e32 v68, 8
	s_and_b64 s[16:17], s[22:23], s[16:17]
	v_cndmask_b32_e64 v1, v68, v1, s[16:17]
.LBB0_179:
	s_or_b64 exec, exec, s[28:29]
.LBB0_180:
	s_or_b64 exec, exec, s[26:27]
	buffer_load_dword v68, v1, s[0:3], 0 offen
	s_waitcnt vmcnt(0)
	v_or_b32_e32 v68, 0x20000, v68
	buffer_store_dword v68, v1, s[0:3], 0 offen
.LBB0_181:
	s_or_b64 exec, exec, s[24:25]
	s_and_b64 s[16:17], s[18:19], s[20:21]
	s_and_b64 s[16:17], s[16:17], s[10:11]
	s_xor_b64 s[16:17], s[16:17], -1
	s_and_saveexec_b64 s[22:23], s[16:17]
	s_cbranch_execz .LBB0_191
; %bb.182:
	v_cmp_nle_f64_e64 s[16:17], 1.0, v[110:111]
	v_cmp_nle_f64_e64 s[18:19], 1.0, v[100:101]
	s_or_b64 s[18:19], s[16:17], s[18:19]
	v_cmp_nle_f64_e64 s[16:17], 1.0, v[56:57]
	s_or_b64 s[16:17], s[18:19], s[16:17]
	s_and_b64 exec, exec, s[16:17]
	s_cbranch_execz .LBB0_191
; %bb.183:
	v_cmp_ngt_f64_e64 s[16:17], 0, v[108:109]
	v_cmp_ngt_f64_e64 s[18:19], 0, v[66:67]
	s_or_b64 s[18:19], s[16:17], s[18:19]
	v_cmp_ngt_f64_e64 s[16:17], 0, v[52:53]
	s_or_b64 s[16:17], s[18:19], s[16:17]
	s_and_b64 exec, exec, s[16:17]
	s_cbranch_execz .LBB0_191
; %bb.184:
	v_cmp_nle_f64_e64 s[16:17], 1.0, v[108:109]
	v_cmp_nle_f64_e64 s[18:19], 1.0, v[66:67]
	s_or_b64 s[18:19], s[16:17], s[18:19]
	v_cmp_nle_f64_e64 s[16:17], 1.0, v[52:53]
	s_or_b64 s[16:17], s[18:19], s[16:17]
	s_and_b64 exec, exec, s[16:17]
	s_cbranch_execz .LBB0_191
; %bb.185:
	v_cmp_ngt_f64_e64 s[16:17], 0, v[102:103]
	v_cmp_ngt_f64_e64 s[18:19], 0, v[64:65]
	s_or_b64 s[18:19], s[16:17], s[18:19]
	v_cmp_ngt_f64_e64 s[16:17], 0, v[48:49]
	s_or_b64 s[16:17], s[18:19], s[16:17]
	s_and_b64 exec, exec, s[16:17]
	s_cbranch_execz .LBB0_191
; %bb.186:
	v_cmp_le_f64_e64 s[16:17], 0, v[110:111]
	v_cmp_le_f64_e64 s[18:19], 0, v[100:101]
	s_and_b64 s[18:19], s[16:17], s[18:19]
	v_cmp_le_f64_e64 s[16:17], 0, v[56:57]
	s_and_b64 s[18:19], s[18:19], s[16:17]
	v_cmp_gt_f64_e64 s[16:17], 1.0, v[110:111]
	s_and_b64 s[18:19], s[16:17], s[18:19]
	v_cmp_gt_f64_e64 s[16:17], 1.0, v[100:101]
	;; [unrolled: 2-line block ×3, first 2 shown]
	s_and_b64 s[18:19], s[18:19], s[16:17]
	v_cmp_le_f64_e64 s[16:17], 0, v[108:109]
	s_and_b64 s[18:19], s[16:17], s[18:19]
	v_cmp_le_f64_e64 s[16:17], 0, v[66:67]
	;; [unrolled: 2-line block ×3, first 2 shown]
	s_and_b64 s[18:19], s[18:19], s[16:17]
	v_cmp_gt_f64_e64 s[16:17], 1.0, v[108:109]
	s_and_b64 s[18:19], s[16:17], s[18:19]
	v_cmp_gt_f64_e64 s[16:17], 1.0, v[66:67]
	;; [unrolled: 2-line block ×3, first 2 shown]
	s_and_b64 s[16:17], s[18:19], s[16:17]
	v_mov_b32_e32 v1, 8
	s_and_saveexec_b64 s[24:25], s[16:17]
	s_cbranch_execz .LBB0_190
; %bb.187:
	v_cmp_nge_f64_e64 s[16:17], v[102:103], v[36:37]
	v_cmp_nge_f64_e64 s[18:19], v[64:65], v[36:37]
	s_or_b64 s[18:19], s[16:17], s[18:19]
	v_cmp_nge_f64_e64 s[16:17], v[48:49], v[36:37]
	s_or_b64 s[16:17], s[18:19], s[16:17]
	v_mov_b32_e32 v1, 4
	s_and_saveexec_b64 s[26:27], s[16:17]
	s_cbranch_execz .LBB0_189
; %bb.188:
	v_cmp_le_f64_e64 s[16:17], 0, v[102:103]
	v_cmp_le_f64_e64 s[18:19], 0, v[64:65]
	s_and_b64 s[18:19], s[16:17], s[18:19]
	v_cmp_le_f64_e64 s[16:17], 0, v[48:49]
	s_and_b64 s[18:19], s[18:19], s[16:17]
	v_cmp_lt_f64_e64 s[16:17], v[102:103], v[36:37]
	s_and_b64 s[18:19], s[16:17], s[18:19]
	v_cmp_lt_f64_e64 s[16:17], v[64:65], v[36:37]
	;; [unrolled: 2-line block ×3, first 2 shown]
	v_mov_b32_e32 v1, 0
	v_mov_b32_e32 v68, 8
	s_and_b64 s[16:17], s[18:19], s[16:17]
	v_cndmask_b32_e64 v1, v68, v1, s[16:17]
.LBB0_189:
	s_or_b64 exec, exec, s[26:27]
.LBB0_190:
	s_or_b64 exec, exec, s[24:25]
	buffer_load_dword v68, v1, s[0:3], 0 offen
	s_waitcnt vmcnt(0)
	v_or_b32_e32 v68, 0x40000, v68
	buffer_store_dword v68, v1, s[0:3], 0 offen
.LBB0_191:
	s_or_b64 exec, exec, s[22:23]
	s_and_b64 s[10:11], s[10:11], s[20:21]
	s_and_b64 s[8:9], s[8:9], s[10:11]
	s_xor_b64 s[8:9], s[8:9], -1
	s_and_saveexec_b64 s[16:17], s[8:9]
	s_cbranch_execz .LBB0_201
; %bb.192:
	v_cmp_nle_f64_e64 s[8:9], 1.0, v[56:57]
	v_cmp_nle_f64_e64 s[10:11], 1.0, v[100:101]
	s_or_b64 s[10:11], s[8:9], s[10:11]
	v_cmp_nle_f64_e64 s[8:9], 1.0, v[54:55]
	s_or_b64 s[8:9], s[8:9], s[10:11]
	s_and_b64 exec, exec, s[8:9]
	s_cbranch_execz .LBB0_201
; %bb.193:
	v_cmp_ngt_f64_e64 s[8:9], 0, v[52:53]
	v_cmp_ngt_f64_e64 s[10:11], 0, v[66:67]
	s_or_b64 s[10:11], s[8:9], s[10:11]
	v_cmp_ngt_f64_e64 s[8:9], 0, v[50:51]
	s_or_b64 s[8:9], s[10:11], s[8:9]
	s_and_b64 exec, exec, s[8:9]
	s_cbranch_execz .LBB0_201
; %bb.194:
	v_cmp_nle_f64_e64 s[8:9], 1.0, v[52:53]
	v_cmp_nle_f64_e64 s[10:11], 1.0, v[66:67]
	s_or_b64 s[10:11], s[8:9], s[10:11]
	v_cmp_nle_f64_e64 s[8:9], 1.0, v[50:51]
	s_or_b64 s[8:9], s[10:11], s[8:9]
	s_and_b64 exec, exec, s[8:9]
	s_cbranch_execz .LBB0_201
; %bb.195:
	v_cmp_ngt_f64_e64 s[8:9], 0, v[48:49]
	v_cmp_ngt_f64_e64 s[10:11], 0, v[64:65]
	s_or_b64 s[10:11], s[8:9], s[10:11]
	v_cmp_ngt_f64_e64 s[8:9], 0, v[46:47]
	s_or_b64 s[8:9], s[10:11], s[8:9]
	s_and_b64 exec, exec, s[8:9]
	s_cbranch_execz .LBB0_201
; %bb.196:
	v_cmp_le_f64_e64 s[8:9], 0, v[56:57]
	v_cmp_le_f64_e64 s[10:11], 0, v[100:101]
	s_and_b64 s[10:11], s[8:9], s[10:11]
	v_cmp_le_f64_e64 s[8:9], 0, v[54:55]
	s_and_b64 s[10:11], s[8:9], s[10:11]
	v_cmp_gt_f64_e64 s[8:9], 1.0, v[56:57]
	s_and_b64 s[10:11], s[8:9], s[10:11]
	v_cmp_gt_f64_e64 s[8:9], 1.0, v[100:101]
	;; [unrolled: 2-line block ×3, first 2 shown]
	s_and_b64 s[10:11], s[8:9], s[10:11]
	v_cmp_le_f64_e64 s[8:9], 0, v[52:53]
	s_and_b64 s[10:11], s[8:9], s[10:11]
	v_cmp_le_f64_e64 s[8:9], 0, v[66:67]
	;; [unrolled: 2-line block ×3, first 2 shown]
	s_and_b64 s[10:11], s[10:11], s[8:9]
	v_cmp_gt_f64_e64 s[8:9], 1.0, v[52:53]
	s_and_b64 s[10:11], s[8:9], s[10:11]
	v_cmp_gt_f64_e64 s[8:9], 1.0, v[66:67]
	;; [unrolled: 2-line block ×3, first 2 shown]
	s_and_b64 s[8:9], s[10:11], s[8:9]
	v_mov_b32_e32 v1, 8
	s_and_saveexec_b64 s[18:19], s[8:9]
	s_cbranch_execz .LBB0_200
; %bb.197:
	v_cmp_nge_f64_e64 s[8:9], v[48:49], v[36:37]
	v_cmp_nge_f64_e64 s[10:11], v[64:65], v[36:37]
	s_or_b64 s[10:11], s[8:9], s[10:11]
	v_cmp_nge_f64_e64 s[8:9], v[46:47], v[36:37]
	s_or_b64 s[8:9], s[10:11], s[8:9]
	v_mov_b32_e32 v1, 4
	s_and_saveexec_b64 s[20:21], s[8:9]
	s_cbranch_execz .LBB0_199
; %bb.198:
	v_cmp_le_f64_e64 s[8:9], 0, v[48:49]
	v_cmp_le_f64_e64 s[10:11], 0, v[64:65]
	s_and_b64 s[10:11], s[8:9], s[10:11]
	v_cmp_le_f64_e64 s[8:9], 0, v[46:47]
	s_and_b64 s[10:11], s[10:11], s[8:9]
	v_cmp_lt_f64_e64 s[8:9], v[48:49], v[36:37]
	s_and_b64 s[10:11], s[8:9], s[10:11]
	v_cmp_lt_f64_e64 s[8:9], v[64:65], v[36:37]
	;; [unrolled: 2-line block ×3, first 2 shown]
	v_mov_b32_e32 v1, 0
	v_mov_b32_e32 v46, 8
	s_and_b64 s[8:9], s[10:11], s[8:9]
	v_cndmask_b32_e64 v1, v46, v1, s[8:9]
.LBB0_199:
	s_or_b64 exec, exec, s[20:21]
.LBB0_200:
	s_or_b64 exec, exec, s[18:19]
	buffer_load_dword v46, v1, s[0:3], 0 offen
	s_waitcnt vmcnt(0)
	v_or_b32_e32 v46, 0x80000, v46
	buffer_store_dword v46, v1, s[0:3], 0 offen
.LBB0_201:
	s_or_b64 exec, exec, s[16:17]
	v_add_f64 v[20:21], v[20:21], v[28:29]
	v_add_f64 v[20:21], v[20:21], v[92:93]
	s_mov_b32 s8, 0
	v_add_f64 v[20:21], v[82:83], v[20:21]
	s_mov_b32 s9, 0x3fd00000
	v_add_f64 v[18:19], v[18:19], v[38:39]
	v_add_f64 v[14:15], v[14:15], v[40:41]
	v_fma_f64 v[20:21], v[20:21], s[8:9], -v[2:3]
	v_add_f64 v[18:19], v[18:19], v[84:85]
	v_add_f64 v[14:15], v[14:15], v[88:89]
	v_mul_f64 v[20:21], v[34:35], v[20:21]
	v_add_f64 v[18:19], v[86:87], v[18:19]
	v_add_f64 v[14:15], v[90:91], v[14:15]
	v_fma_f64 v[18:19], v[18:19], s[8:9], -v[10:11]
	v_fma_f64 v[14:15], v[14:15], s[8:9], -v[6:7]
	v_cmp_gt_f64_e64 s[8:9], 0, v[20:21]
	s_and_b64 s[10:11], vcc, s[8:9]
	s_and_b64 s[10:11], s[10:11], s[6:7]
	v_mul_f64 v[18:19], v[8:9], v[18:19]
	s_xor_b64 s[10:11], s[10:11], -1
	s_and_saveexec_b64 s[18:19], s[10:11]
	s_cbranch_execz .LBB0_211
; %bb.202:
	v_cmp_nle_f64_e64 s[10:11], 1.0, v[26:27]
	v_cmp_nle_f64_e64 s[16:17], 1.0, v[20:21]
	s_or_b64 s[16:17], s[10:11], s[16:17]
	v_cmp_nle_f64_e64 s[10:11], 1.0, v[44:45]
	s_or_b64 s[10:11], s[16:17], s[10:11]
	s_and_b64 exec, exec, s[10:11]
	s_cbranch_execz .LBB0_211
; %bb.203:
	v_cmp_ngt_f64_e64 s[10:11], 0, v[24:25]
	v_cmp_ngt_f64_e64 s[16:17], 0, v[18:19]
	s_or_b64 s[16:17], s[10:11], s[16:17]
	v_cmp_ngt_f64_e64 s[10:11], 0, v[42:43]
	s_or_b64 s[10:11], s[16:17], s[10:11]
	s_and_b64 exec, exec, s[10:11]
	s_cbranch_execz .LBB0_211
; %bb.204:
	v_cmp_nle_f64_e64 s[10:11], 1.0, v[24:25]
	v_cmp_nle_f64_e64 s[16:17], 1.0, v[18:19]
	s_or_b64 s[16:17], s[10:11], s[16:17]
	v_cmp_nle_f64_e64 s[10:11], 1.0, v[42:43]
	s_or_b64 s[10:11], s[16:17], s[10:11]
	s_and_b64 exec, exec, s[10:11]
	s_cbranch_execz .LBB0_211
; %bb.205:
	v_cmp_ngt_f64_e64 s[10:11], 0, v[22:23]
	v_cmp_ngt_f64_e64 s[16:17], 0, v[14:15]
	s_or_b64 s[16:17], s[10:11], s[16:17]
	v_cmp_ngt_f64_e64 s[10:11], 0, v[30:31]
	s_or_b64 s[10:11], s[16:17], s[10:11]
	s_and_b64 exec, exec, s[10:11]
	s_cbranch_execz .LBB0_211
; %bb.206:
	v_cmp_le_f64_e64 s[10:11], 0, v[26:27]
	v_cmp_le_f64_e64 s[16:17], 0, v[20:21]
	s_and_b64 s[16:17], s[10:11], s[16:17]
	v_cmp_le_f64_e64 s[10:11], 0, v[44:45]
	s_and_b64 s[16:17], s[16:17], s[10:11]
	v_cmp_gt_f64_e64 s[10:11], 1.0, v[26:27]
	s_and_b64 s[16:17], s[10:11], s[16:17]
	v_cmp_gt_f64_e64 s[10:11], 1.0, v[20:21]
	s_and_b64 s[16:17], s[16:17], s[10:11]
	v_cmp_gt_f64_e64 s[10:11], 1.0, v[44:45]
	s_and_b64 s[16:17], s[16:17], s[10:11]
	v_cmp_le_f64_e64 s[10:11], 0, v[24:25]
	s_and_b64 s[16:17], s[10:11], s[16:17]
	v_cmp_le_f64_e64 s[10:11], 0, v[18:19]
	;; [unrolled: 2-line block ×3, first 2 shown]
	s_and_b64 s[16:17], s[16:17], s[10:11]
	v_cmp_gt_f64_e64 s[10:11], 1.0, v[24:25]
	s_and_b64 s[16:17], s[10:11], s[16:17]
	v_cmp_gt_f64_e64 s[10:11], 1.0, v[18:19]
	;; [unrolled: 2-line block ×3, first 2 shown]
	s_and_b64 s[10:11], s[16:17], s[10:11]
	v_mov_b32_e32 v1, 8
	s_and_saveexec_b64 s[20:21], s[10:11]
	s_cbranch_execz .LBB0_210
; %bb.207:
	v_cmp_nge_f64_e64 s[10:11], v[22:23], v[36:37]
	v_cmp_nge_f64_e64 s[16:17], v[14:15], v[36:37]
	s_or_b64 s[16:17], s[10:11], s[16:17]
	v_cmp_nge_f64_e64 s[10:11], v[30:31], v[36:37]
	s_or_b64 s[10:11], s[16:17], s[10:11]
	v_mov_b32_e32 v1, 4
	s_and_saveexec_b64 s[22:23], s[10:11]
	s_cbranch_execz .LBB0_209
; %bb.208:
	v_cmp_le_f64_e64 s[10:11], 0, v[22:23]
	v_cmp_le_f64_e64 s[16:17], 0, v[14:15]
	s_and_b64 s[16:17], s[10:11], s[16:17]
	v_cmp_le_f64_e64 s[10:11], 0, v[30:31]
	s_and_b64 s[16:17], s[16:17], s[10:11]
	v_cmp_lt_f64_e64 s[10:11], v[22:23], v[36:37]
	s_and_b64 s[16:17], s[10:11], s[16:17]
	v_cmp_lt_f64_e64 s[10:11], v[14:15], v[36:37]
	;; [unrolled: 2-line block ×3, first 2 shown]
	v_mov_b32_e32 v1, 0
	v_mov_b32_e32 v28, 8
	s_and_b64 s[10:11], s[16:17], s[10:11]
	v_cndmask_b32_e64 v1, v28, v1, s[10:11]
.LBB0_209:
	s_or_b64 exec, exec, s[22:23]
.LBB0_210:
	s_or_b64 exec, exec, s[20:21]
	buffer_load_dword v28, v1, s[0:3], 0 offen
	s_waitcnt vmcnt(0)
	v_or_b32_e32 v28, 0x100000, v28
	buffer_store_dword v28, v1, s[0:3], 0 offen
.LBB0_211:
	s_or_b64 exec, exec, s[18:19]
	s_and_b64 s[6:7], s[6:7], s[8:9]
	s_and_b64 s[6:7], s[6:7], s[14:15]
	s_xor_b64 s[6:7], s[6:7], -1
	s_and_saveexec_b64 s[16:17], s[6:7]
	s_cbranch_execz .LBB0_221
; %bb.212:
	v_cmp_nle_f64_e64 s[6:7], 1.0, v[44:45]
	v_cmp_nle_f64_e64 s[10:11], 1.0, v[20:21]
	s_or_b64 s[10:11], s[6:7], s[10:11]
	v_cmp_nle_f64_e64 s[6:7], 1.0, v[80:81]
	s_or_b64 s[6:7], s[10:11], s[6:7]
	s_and_b64 exec, exec, s[6:7]
	s_cbranch_execz .LBB0_221
; %bb.213:
	v_cmp_ngt_f64_e64 s[6:7], 0, v[42:43]
	v_cmp_ngt_f64_e64 s[10:11], 0, v[18:19]
	s_or_b64 s[10:11], s[6:7], s[10:11]
	v_cmp_ngt_f64_e64 s[6:7], 0, v[78:79]
	s_or_b64 s[6:7], s[10:11], s[6:7]
	s_and_b64 exec, exec, s[6:7]
	s_cbranch_execz .LBB0_221
; %bb.214:
	v_cmp_nle_f64_e64 s[6:7], 1.0, v[42:43]
	v_cmp_nle_f64_e64 s[10:11], 1.0, v[18:19]
	s_or_b64 s[10:11], s[6:7], s[10:11]
	v_cmp_nle_f64_e64 s[6:7], 1.0, v[78:79]
	s_or_b64 s[6:7], s[10:11], s[6:7]
	s_and_b64 exec, exec, s[6:7]
	s_cbranch_execz .LBB0_221
; %bb.215:
	v_cmp_ngt_f64_e64 s[6:7], 0, v[30:31]
	v_cmp_ngt_f64_e64 s[10:11], 0, v[14:15]
	s_or_b64 s[10:11], s[6:7], s[10:11]
	v_cmp_ngt_f64_e64 s[6:7], 0, v[70:71]
	s_or_b64 s[6:7], s[10:11], s[6:7]
	s_and_b64 exec, exec, s[6:7]
	s_cbranch_execz .LBB0_221
; %bb.216:
	v_cmp_le_f64_e64 s[6:7], 0, v[44:45]
	v_cmp_le_f64_e64 s[10:11], 0, v[20:21]
	s_and_b64 s[10:11], s[6:7], s[10:11]
	v_cmp_le_f64_e64 s[6:7], 0, v[80:81]
	s_and_b64 s[10:11], s[10:11], s[6:7]
	v_cmp_gt_f64_e64 s[6:7], 1.0, v[44:45]
	s_and_b64 s[10:11], s[6:7], s[10:11]
	v_cmp_gt_f64_e64 s[6:7], 1.0, v[20:21]
	;; [unrolled: 2-line block ×3, first 2 shown]
	s_and_b64 s[10:11], s[10:11], s[6:7]
	v_cmp_le_f64_e64 s[6:7], 0, v[42:43]
	s_and_b64 s[10:11], s[6:7], s[10:11]
	v_cmp_le_f64_e64 s[6:7], 0, v[18:19]
	;; [unrolled: 2-line block ×3, first 2 shown]
	s_and_b64 s[10:11], s[10:11], s[6:7]
	v_cmp_gt_f64_e64 s[6:7], 1.0, v[42:43]
	s_and_b64 s[10:11], s[6:7], s[10:11]
	v_cmp_gt_f64_e64 s[6:7], 1.0, v[18:19]
	;; [unrolled: 2-line block ×3, first 2 shown]
	s_and_b64 s[6:7], s[10:11], s[6:7]
	v_mov_b32_e32 v1, 8
	s_and_saveexec_b64 s[18:19], s[6:7]
	s_cbranch_execz .LBB0_220
; %bb.217:
	v_cmp_nge_f64_e64 s[6:7], v[30:31], v[36:37]
	v_cmp_nge_f64_e64 s[10:11], v[14:15], v[36:37]
	s_or_b64 s[10:11], s[6:7], s[10:11]
	v_cmp_nge_f64_e64 s[6:7], v[70:71], v[36:37]
	s_or_b64 s[6:7], s[10:11], s[6:7]
	v_mov_b32_e32 v1, 4
	s_and_saveexec_b64 s[20:21], s[6:7]
	s_cbranch_execz .LBB0_219
; %bb.218:
	v_cmp_le_f64_e64 s[6:7], 0, v[30:31]
	v_cmp_le_f64_e64 s[10:11], 0, v[14:15]
	s_and_b64 s[10:11], s[6:7], s[10:11]
	v_cmp_le_f64_e64 s[6:7], 0, v[70:71]
	s_and_b64 s[10:11], s[10:11], s[6:7]
	v_cmp_lt_f64_e64 s[6:7], v[30:31], v[36:37]
	s_and_b64 s[10:11], s[6:7], s[10:11]
	v_cmp_lt_f64_e64 s[6:7], v[14:15], v[36:37]
	s_and_b64 s[10:11], s[10:11], s[6:7]
	v_cmp_lt_f64_e64 s[6:7], v[70:71], v[36:37]
	v_mov_b32_e32 v1, 0
	v_mov_b32_e32 v28, 8
	s_and_b64 s[6:7], s[10:11], s[6:7]
	v_cndmask_b32_e64 v1, v28, v1, s[6:7]
.LBB0_219:
	s_or_b64 exec, exec, s[20:21]
.LBB0_220:
	s_or_b64 exec, exec, s[18:19]
	buffer_load_dword v28, v1, s[0:3], 0 offen
	s_waitcnt vmcnt(0)
	v_or_b32_e32 v28, 0x200000, v28
	buffer_store_dword v28, v1, s[0:3], 0 offen
.LBB0_221:
	s_or_b64 exec, exec, s[16:17]
	s_and_b64 s[6:7], s[14:15], s[8:9]
	s_and_b64 s[6:7], s[6:7], s[12:13]
	s_xor_b64 s[6:7], s[6:7], -1
	s_and_saveexec_b64 s[14:15], s[6:7]
	s_cbranch_execz .LBB0_231
; %bb.222:
	v_cmp_nle_f64_e64 s[6:7], 1.0, v[80:81]
	v_cmp_nle_f64_e64 s[10:11], 1.0, v[20:21]
	s_or_b64 s[10:11], s[6:7], s[10:11]
	v_cmp_nle_f64_e64 s[6:7], 1.0, v[62:63]
	s_or_b64 s[6:7], s[10:11], s[6:7]
	s_and_b64 exec, exec, s[6:7]
	s_cbranch_execz .LBB0_231
; %bb.223:
	v_cmp_ngt_f64_e64 s[6:7], 0, v[78:79]
	v_cmp_ngt_f64_e64 s[10:11], 0, v[18:19]
	s_or_b64 s[10:11], s[6:7], s[10:11]
	v_cmp_ngt_f64_e64 s[6:7], 0, v[60:61]
	s_or_b64 s[6:7], s[10:11], s[6:7]
	s_and_b64 exec, exec, s[6:7]
	s_cbranch_execz .LBB0_231
; %bb.224:
	v_cmp_nle_f64_e64 s[6:7], 1.0, v[78:79]
	v_cmp_nle_f64_e64 s[10:11], 1.0, v[18:19]
	s_or_b64 s[10:11], s[6:7], s[10:11]
	v_cmp_nle_f64_e64 s[6:7], 1.0, v[60:61]
	s_or_b64 s[6:7], s[10:11], s[6:7]
	s_and_b64 exec, exec, s[6:7]
	s_cbranch_execz .LBB0_231
; %bb.225:
	v_cmp_ngt_f64_e64 s[6:7], 0, v[70:71]
	v_cmp_ngt_f64_e64 s[10:11], 0, v[14:15]
	s_or_b64 s[10:11], s[6:7], s[10:11]
	v_cmp_ngt_f64_e64 s[6:7], 0, v[58:59]
	s_or_b64 s[6:7], s[10:11], s[6:7]
	s_and_b64 exec, exec, s[6:7]
	s_cbranch_execz .LBB0_231
; %bb.226:
	v_cmp_le_f64_e64 s[6:7], 0, v[80:81]
	v_cmp_le_f64_e64 s[10:11], 0, v[20:21]
	s_and_b64 s[10:11], s[6:7], s[10:11]
	v_cmp_le_f64_e64 s[6:7], 0, v[62:63]
	s_and_b64 s[10:11], s[10:11], s[6:7]
	v_cmp_gt_f64_e64 s[6:7], 1.0, v[80:81]
	s_and_b64 s[10:11], s[6:7], s[10:11]
	v_cmp_gt_f64_e64 s[6:7], 1.0, v[20:21]
	;; [unrolled: 2-line block ×3, first 2 shown]
	s_and_b64 s[10:11], s[10:11], s[6:7]
	v_cmp_le_f64_e64 s[6:7], 0, v[78:79]
	s_and_b64 s[10:11], s[6:7], s[10:11]
	v_cmp_le_f64_e64 s[6:7], 0, v[18:19]
	;; [unrolled: 2-line block ×3, first 2 shown]
	s_and_b64 s[10:11], s[10:11], s[6:7]
	v_cmp_gt_f64_e64 s[6:7], 1.0, v[78:79]
	s_and_b64 s[10:11], s[6:7], s[10:11]
	v_cmp_gt_f64_e64 s[6:7], 1.0, v[18:19]
	;; [unrolled: 2-line block ×3, first 2 shown]
	s_and_b64 s[6:7], s[10:11], s[6:7]
	v_mov_b32_e32 v1, 8
	s_and_saveexec_b64 s[16:17], s[6:7]
	s_cbranch_execz .LBB0_230
; %bb.227:
	v_cmp_nge_f64_e64 s[6:7], v[70:71], v[36:37]
	v_cmp_nge_f64_e64 s[10:11], v[14:15], v[36:37]
	s_or_b64 s[10:11], s[6:7], s[10:11]
	v_cmp_nge_f64_e64 s[6:7], v[58:59], v[36:37]
	s_or_b64 s[6:7], s[10:11], s[6:7]
	v_mov_b32_e32 v1, 4
	s_and_saveexec_b64 s[18:19], s[6:7]
	s_cbranch_execz .LBB0_229
; %bb.228:
	v_cmp_le_f64_e64 s[6:7], 0, v[70:71]
	v_cmp_le_f64_e64 s[10:11], 0, v[14:15]
	s_and_b64 s[10:11], s[6:7], s[10:11]
	v_cmp_le_f64_e64 s[6:7], 0, v[58:59]
	s_and_b64 s[10:11], s[10:11], s[6:7]
	v_cmp_lt_f64_e64 s[6:7], v[70:71], v[36:37]
	s_and_b64 s[10:11], s[6:7], s[10:11]
	v_cmp_lt_f64_e64 s[6:7], v[14:15], v[36:37]
	;; [unrolled: 2-line block ×3, first 2 shown]
	v_mov_b32_e32 v1, 0
	v_mov_b32_e32 v28, 8
	s_and_b64 s[6:7], s[10:11], s[6:7]
	v_cndmask_b32_e64 v1, v28, v1, s[6:7]
.LBB0_229:
	s_or_b64 exec, exec, s[18:19]
.LBB0_230:
	s_or_b64 exec, exec, s[16:17]
	buffer_load_dword v28, v1, s[0:3], 0 offen
	s_waitcnt vmcnt(0)
	v_or_b32_e32 v28, 0x400000, v28
	buffer_store_dword v28, v1, s[0:3], 0 offen
.LBB0_231:
	s_or_b64 exec, exec, s[14:15]
	s_and_b64 s[6:7], s[12:13], s[8:9]
	s_and_b64 s[6:7], s[6:7], vcc
	s_xor_b64 s[6:7], s[6:7], -1
	s_and_saveexec_b64 s[8:9], s[6:7]
	s_cbranch_execz .LBB0_241
; %bb.232:
	v_cmp_nle_f64_e32 vcc, 1.0, v[62:63]
	v_cmp_nle_f64_e64 s[6:7], 1.0, v[20:21]
	s_or_b64 s[6:7], vcc, s[6:7]
	v_cmp_nle_f64_e32 vcc, 1.0, v[26:27]
	s_or_b64 s[6:7], s[6:7], vcc
	s_and_b64 exec, exec, s[6:7]
	s_cbranch_execz .LBB0_241
; %bb.233:
	v_cmp_ngt_f64_e32 vcc, 0, v[60:61]
	v_cmp_ngt_f64_e64 s[6:7], 0, v[18:19]
	s_or_b64 s[6:7], vcc, s[6:7]
	v_cmp_ngt_f64_e32 vcc, 0, v[24:25]
	s_or_b64 s[6:7], s[6:7], vcc
	s_and_b64 exec, exec, s[6:7]
	s_cbranch_execz .LBB0_241
; %bb.234:
	v_cmp_nle_f64_e32 vcc, 1.0, v[60:61]
	v_cmp_nle_f64_e64 s[6:7], 1.0, v[18:19]
	s_or_b64 s[6:7], vcc, s[6:7]
	v_cmp_nle_f64_e32 vcc, 1.0, v[24:25]
	s_or_b64 s[6:7], s[6:7], vcc
	s_and_b64 exec, exec, s[6:7]
	s_cbranch_execz .LBB0_241
; %bb.235:
	v_cmp_ngt_f64_e32 vcc, 0, v[58:59]
	v_cmp_ngt_f64_e64 s[6:7], 0, v[14:15]
	s_or_b64 s[6:7], vcc, s[6:7]
	v_cmp_ngt_f64_e32 vcc, 0, v[22:23]
	s_or_b64 s[6:7], s[6:7], vcc
	s_and_b64 exec, exec, s[6:7]
	s_cbranch_execz .LBB0_241
; %bb.236:
	v_cmp_le_f64_e32 vcc, 0, v[62:63]
	v_cmp_le_f64_e64 s[6:7], 0, v[20:21]
	s_and_b64 s[6:7], vcc, s[6:7]
	v_cmp_le_f64_e32 vcc, 0, v[26:27]
	s_and_b64 s[6:7], s[6:7], vcc
	v_cmp_gt_f64_e32 vcc, 1.0, v[62:63]
	s_and_b64 s[6:7], vcc, s[6:7]
	v_cmp_gt_f64_e32 vcc, 1.0, v[20:21]
	s_and_b64 s[6:7], s[6:7], vcc
	v_cmp_gt_f64_e32 vcc, 1.0, v[26:27]
	s_and_b64 s[6:7], s[6:7], vcc
	v_cmp_le_f64_e32 vcc, 0, v[60:61]
	s_and_b64 s[6:7], vcc, s[6:7]
	v_cmp_le_f64_e32 vcc, 0, v[18:19]
	s_and_b64 s[6:7], s[6:7], vcc
	v_cmp_le_f64_e32 vcc, 0, v[24:25]
	s_and_b64 s[6:7], s[6:7], vcc
	v_cmp_gt_f64_e32 vcc, 1.0, v[60:61]
	s_and_b64 s[6:7], vcc, s[6:7]
	v_cmp_gt_f64_e32 vcc, 1.0, v[18:19]
	s_and_b64 s[6:7], s[6:7], vcc
	v_cmp_gt_f64_e32 vcc, 1.0, v[24:25]
	s_and_b64 s[6:7], s[6:7], vcc
	v_mov_b32_e32 v1, 8
	s_and_saveexec_b64 s[10:11], s[6:7]
	s_cbranch_execz .LBB0_240
; %bb.237:
	v_cmp_nge_f64_e32 vcc, v[58:59], v[36:37]
	v_cmp_nge_f64_e64 s[6:7], v[14:15], v[36:37]
	s_or_b64 s[6:7], vcc, s[6:7]
	v_cmp_nge_f64_e32 vcc, v[22:23], v[36:37]
	s_or_b64 s[6:7], s[6:7], vcc
	v_mov_b32_e32 v1, 4
	s_and_saveexec_b64 s[12:13], s[6:7]
	s_cbranch_execz .LBB0_239
; %bb.238:
	v_cmp_le_f64_e32 vcc, 0, v[58:59]
	v_cmp_le_f64_e64 s[6:7], 0, v[14:15]
	s_and_b64 s[6:7], vcc, s[6:7]
	v_cmp_le_f64_e32 vcc, 0, v[22:23]
	s_and_b64 s[6:7], s[6:7], vcc
	v_cmp_lt_f64_e32 vcc, v[58:59], v[36:37]
	s_and_b64 s[6:7], vcc, s[6:7]
	v_cmp_lt_f64_e32 vcc, v[14:15], v[36:37]
	s_and_b64 s[6:7], s[6:7], vcc
	v_cmp_lt_f64_e32 vcc, v[22:23], v[36:37]
	v_mov_b32_e32 v1, 0
	v_mov_b32_e32 v14, 8
	s_and_b64 vcc, s[6:7], vcc
	v_cndmask_b32_e32 v1, v14, v1, vcc
.LBB0_239:
	s_or_b64 exec, exec, s[12:13]
.LBB0_240:
	s_or_b64 exec, exec, s[10:11]
	buffer_load_dword v14, v1, s[0:3], 0 offen
	s_waitcnt vmcnt(0)
	v_or_b32_e32 v14, 0x800000, v14
	buffer_store_dword v14, v1, s[0:3], 0 offen
.LBB0_241:
	s_or_b64 exec, exec, s[8:9]
	buffer_load_dword v1, off, s[0:3], 0 offset:8
	v_mov_b32_e32 v40, 0
	s_waitcnt vmcnt(0)
	v_and_b32_e32 v14, 1, v1
	v_cmp_eq_u32_e32 vcc, 1, v14
	s_and_saveexec_b64 s[6:7], vcc
	s_cbranch_execz .LBB0_243
; %bb.242:
	v_mov_b32_e32 v14, 0
	v_mov_b32_e32 v40, 1
	buffer_store_byte v14, off, s[0:3], 0 offset:16
.LBB0_243:
	s_or_b64 exec, exec, s[6:7]
	v_and_b32_e32 v14, 2, v1
	v_cmp_ne_u32_e32 vcc, 0, v14
	s_and_saveexec_b64 s[6:7], vcc
	s_cbranch_execz .LBB0_245
; %bb.244:
	v_add_u32_e32 v14, 1, v40
	v_or_b32_e32 v15, 16, v40
	v_mov_b32_e32 v18, 1
	v_mov_b32_e32 v40, v14
	buffer_store_byte v18, v15, s[0:3], 0 offen
.LBB0_245:
	s_or_b64 exec, exec, s[6:7]
	v_and_b32_e32 v14, 4, v1
	v_cmp_ne_u32_e32 vcc, 0, v14
	s_and_saveexec_b64 s[6:7], vcc
	s_cbranch_execz .LBB0_247
; %bb.246:
	v_or_b32_e32 v14, 16, v40
	v_add_u32_e32 v40, 1, v40
	v_mov_b32_e32 v15, 2
	buffer_store_byte v15, v14, s[0:3], 0 offen
.LBB0_247:
	s_or_b64 exec, exec, s[6:7]
	v_and_b32_e32 v14, 8, v1
	v_cmp_ne_u32_e32 vcc, 0, v14
	s_and_saveexec_b64 s[6:7], vcc
	s_cbranch_execz .LBB0_249
; %bb.248:
	v_or_b32_e32 v14, 16, v40
	v_add_u32_e32 v40, 1, v40
	v_mov_b32_e32 v15, 3
	buffer_store_byte v15, v14, s[0:3], 0 offen
.LBB0_249:
	;; [unrolled: 11-line block ×3, first 2 shown]
	s_or_b64 exec, exec, s[6:7]
	v_and_b32_e32 v14, 32, v1
	v_cmp_ne_u32_e32 vcc, 0, v14
	s_and_saveexec_b64 s[6:7], vcc
	s_cbranch_execz .LBB0_253
; %bb.252:
	v_add_u32_e32 v14, 16, v40
	v_add_u32_e32 v40, 1, v40
	v_mov_b32_e32 v15, 5
	buffer_store_byte v15, v14, s[0:3], 0 offen
.LBB0_253:
	s_or_b64 exec, exec, s[6:7]
	v_and_b32_e32 v14, 64, v1
	v_cmp_ne_u32_e32 vcc, 0, v14
	s_and_saveexec_b64 s[6:7], vcc
	s_cbranch_execz .LBB0_255
; %bb.254:
	v_add_u32_e32 v14, 16, v40
	v_add_u32_e32 v40, 1, v40
	v_mov_b32_e32 v15, 6
	buffer_store_byte v15, v14, s[0:3], 0 offen
.LBB0_255:
	;; [unrolled: 11-line block ×19, first 2 shown]
	s_or_b64 exec, exec, s[6:7]
	v_mov_b32_e32 v66, 0xf0
	v_pk_mov_b32 v[14:15], 0, 0
	v_mul_u32_u24_e32 v58, 0xf8, v0
	v_add_u32_e32 v59, 40, v66
	v_add_u32_e32 v60, 16, v66
	;; [unrolled: 1-line block ×3, first 2 shown]
	v_or_b32_e32 v62, 8, v66
	v_add_u32_e32 v63, 24, v66
	v_add_u32_e32 v64, 32, v66
	;; [unrolled: 1-line block ×3, first 2 shown]
	v_cmp_ne_u32_e32 vcc, 0, v40
	s_mov_b64 s[10:11], 0
	v_mul_f64 v[0:1], v[16:17], 0.5
	v_mul_f64 v[38:39], v[12:13], 0.5
	v_pk_mov_b32 v[12:13], v[14:15], v[14:15] op_sel:[0,1]
	v_pk_mov_b32 v[18:19], v[14:15], v[14:15] op_sel:[0,1]
	;; [unrolled: 1-line block ×3, first 2 shown]
	s_and_saveexec_b64 s[12:13], vcc
	s_cbranch_execz .LBB0_453
; %bb.290:
	v_mov_b32_e32 v42, 0
	v_pk_mov_b32 v[16:17], 0, 0
	s_mov_b32 s14, 0
	s_mov_b32 s16, 0x55555555
	v_mov_b32_e32 v41, v42
	v_add_u32_e32 v67, 0xa0, v58
	v_add_u32_e32 v68, 0x50, v58
	;; [unrolled: 1-line block ×7, first 2 shown]
	v_add_u32_e32 v74, -8, v58
	v_add_u32_e32 v75, 0x48, v58
	v_add_u32_e32 v76, 24, v58
	;; [unrolled: 1-line block ×3, first 2 shown]
	v_mov_b32_e32 v78, 16
	s_mov_b32 s15, 0x3fd00000
	s_mov_b32 s17, 0x3fd55555
	v_mov_b32_e32 v79, 0x3ff00000
	v_pk_mov_b32 v[18:19], v[16:17], v[16:17] op_sel:[0,1]
	v_pk_mov_b32 v[12:13], v[16:17], v[16:17] op_sel:[0,1]
	;; [unrolled: 1-line block ×3, first 2 shown]
	s_mov_b64 s[18:19], 0
	s_branch .LBB0_292
.LBB0_291:                              ;   in Loop: Header=BB0_292 Depth=1
	s_or_b64 exec, exec, s[6:7]
	s_add_u32 s18, s18, 1
	s_addc_u32 s19, s19, 0
	v_cmp_eq_u64_e32 vcc, s[18:19], v[40:41]
	s_or_b64 s[10:11], vcc, s[10:11]
	s_andn2_b64 exec, exec, s[10:11]
	s_cbranch_execz .LBB0_452
.LBB0_292:                              ; =>This Loop Header: Depth=1
                                        ;     Child Loop BB0_353 Depth 2
                                        ;     Child Loop BB0_367 Depth 2
	;; [unrolled: 1-line block ×11, first 2 shown]
	v_add_u32_e32 v20, s18, v78
	buffer_load_ubyte v23, v20, s[0:3], 0 offen
                                        ; implicit-def: $vgpr25
                                        ; implicit-def: $vgpr20
                                        ; implicit-def: $vgpr24
                                        ; implicit-def: $vgpr21
                                        ; implicit-def: $vgpr26
                                        ; implicit-def: $vgpr28
                                        ; implicit-def: $vgpr27
	s_waitcnt vmcnt(0)
	v_lshrrev_b32_e32 v22, 2, v23
	v_cmp_lt_i32_e32 vcc, 1, v22
	s_and_saveexec_b64 s[6:7], vcc
	s_xor_b64 s[6:7], exec, s[6:7]
	s_cbranch_execz .LBB0_306
; %bb.293:                              ;   in Loop: Header=BB0_292 Depth=1
	v_cmp_lt_i32_e32 vcc, 2, v22
                                        ; implicit-def: $vgpr25
                                        ; implicit-def: $vgpr20
                                        ; implicit-def: $vgpr24
                                        ; implicit-def: $vgpr21
                                        ; implicit-def: $vgpr26
                                        ; implicit-def: $vgpr28
                                        ; implicit-def: $vgpr27
	s_and_saveexec_b64 s[8:9], vcc
	s_xor_b64 s[8:9], exec, s[8:9]
	s_cbranch_execz .LBB0_303
; %bb.294:                              ;   in Loop: Header=BB0_292 Depth=1
	v_cmp_lt_i32_e32 vcc, 3, v22
                                        ; implicit-def: $vgpr25
                                        ; implicit-def: $vgpr20
                                        ; implicit-def: $vgpr24
                                        ; implicit-def: $vgpr21
                                        ; implicit-def: $vgpr26
                                        ; implicit-def: $vgpr28
                                        ; implicit-def: $vgpr27
	s_and_saveexec_b64 s[20:21], vcc
	s_xor_b64 s[20:21], exec, s[20:21]
	s_cbranch_execz .LBB0_300
; %bb.295:                              ;   in Loop: Header=BB0_292 Depth=1
	v_cmp_ne_u32_e32 vcc, 4, v22
                                        ; implicit-def: $sgpr24
                                        ; implicit-def: $sgpr25
                                        ; implicit-def: $sgpr26
                                        ; implicit-def: $sgpr27
	s_and_saveexec_b64 s[22:23], vcc
	s_xor_b64 s[22:23], exec, s[22:23]
; %bb.296:                              ;   in Loop: Header=BB0_292 Depth=1
	s_mov_b32 s27, 4
	s_mov_b32 s26, 6
	s_mov_b32 s25, 7
	s_mov_b32 s24, 5
; %bb.297:                              ;   in Loop: Header=BB0_292 Depth=1
	s_or_saveexec_b64 s[22:23], s[22:23]
	v_mov_b32_e32 v25, s24
	v_mov_b32_e32 v24, s25
	;; [unrolled: 1-line block ×8, first 2 shown]
	s_xor_b64 exec, exec, s[22:23]
; %bb.298:                              ;   in Loop: Header=BB0_292 Depth=1
	v_mov_b32_e32 v27, 0xf0
	v_mov_b32_e32 v25, 2
	;; [unrolled: 1-line block ×8, first 2 shown]
; %bb.299:                              ;   in Loop: Header=BB0_292 Depth=1
	s_or_b64 exec, exec, s[22:23]
.LBB0_300:                              ;   in Loop: Header=BB0_292 Depth=1
	s_andn2_saveexec_b64 s[20:21], s[20:21]
; %bb.301:                              ;   in Loop: Header=BB0_292 Depth=1
	v_mov_b32_e32 v25, 6
	v_mov_b32_e32 v24, 7
	;; [unrolled: 1-line block ×8, first 2 shown]
; %bb.302:                              ;   in Loop: Header=BB0_292 Depth=1
	s_or_b64 exec, exec, s[20:21]
.LBB0_303:                              ;   in Loop: Header=BB0_292 Depth=1
	s_andn2_saveexec_b64 s[8:9], s[8:9]
; %bb.304:                              ;   in Loop: Header=BB0_292 Depth=1
	v_mov_b32_e32 v27, 0xf0
	v_mov_b32_e32 v25, 1
	;; [unrolled: 1-line block ×8, first 2 shown]
; %bb.305:                              ;   in Loop: Header=BB0_292 Depth=1
	s_or_b64 exec, exec, s[8:9]
.LBB0_306:                              ;   in Loop: Header=BB0_292 Depth=1
	s_andn2_saveexec_b64 s[6:7], s[6:7]
	s_cbranch_execz .LBB0_310
; %bb.307:                              ;   in Loop: Header=BB0_292 Depth=1
	v_cmp_lt_i32_e32 vcc, 0, v22
	v_mov_b32_e32 v27, 0xf0
	v_mov_b32_e32 v25, 4
	;; [unrolled: 1-line block ×7, first 2 shown]
	s_and_saveexec_b64 s[8:9], vcc
; %bb.308:                              ;   in Loop: Header=BB0_292 Depth=1
	v_mov_b32_e32 v25, 3
	v_mov_b32_e32 v24, 7
	;; [unrolled: 1-line block ×8, first 2 shown]
; %bb.309:                              ;   in Loop: Header=BB0_292 Depth=1
	s_or_b64 exec, exec, s[8:9]
.LBB0_310:                              ;   in Loop: Header=BB0_292 Depth=1
	s_or_b64 exec, exec, s[6:7]
	buffer_load_dword v31, v27, s[0:3], 0 offen offset:4
	buffer_load_dword v30, v27, s[0:3], 0 offen
	buffer_load_dword v45, v28, s[0:3], 0 offen offset:4
	buffer_load_dword v44, v28, s[0:3], 0 offen
	;; [unrolled: 2-line block ×3, first 2 shown]
	buffer_load_dword v46, v21, s[0:3], 0 offen
	buffer_load_dword v49, v20, s[0:3], 0 offen offset:4
	v_lshl_add_u32 v27, v22, 3, v66
	v_lshl_add_u32 v43, v26, 3, v66
	buffer_load_dword v20, v27, s[0:3], 0 offen offset:64
	buffer_load_dword v21, v27, s[0:3], 0 offen offset:68
	;; [unrolled: 1-line block ×3, first 2 shown]
	v_lshl_add_u32 v52, v24, 3, v66
	buffer_load_dword v50, v52, s[0:3], 0 offen offset:64
	buffer_load_dword v51, v52, s[0:3], 0 offen offset:68
	v_lshl_add_u32 v84, v25, 3, v66
	buffer_load_dword v53, v84, s[0:3], 0 offen offset:68
	buffer_load_dword v55, v43, s[0:3], 0 offen offset:132
	;; [unrolled: 1-line block ×9, first 2 shown]
                                        ; kill: killed $vgpr43
                                        ; kill: killed $vgpr27
                                        ; kill: killed $vgpr52
	s_nop 0
	buffer_load_dword v52, v84, s[0:3], 0 offen offset:64
	buffer_load_dword v81, v84, s[0:3], 0 offen offset:132
	v_and_b32_e32 v27, 3, v23
	v_cmp_lt_i32_e32 vcc, 1, v27
                                        ; implicit-def: $vgpr23
	s_waitcnt vmcnt(20)
	v_add_f64 v[30:31], v[30:31], v[44:45]
	s_waitcnt vmcnt(17)
	v_add_f64 v[30:31], v[30:31], v[46:47]
	;; [unrolled: 2-line block ×3, first 2 shown]
	v_fma_f64 v[30:31], v[30:31], s[14:15], -v[2:3]
	v_mul_f64 v[30:31], v[34:35], v[30:31]
	s_waitcnt vmcnt(7)
	v_add_f64 v[20:21], v[20:21], v[28:29]
	s_waitcnt vmcnt(5)
	v_add_f64 v[28:29], v[56:57], v[54:55]
	v_add_f64 v[20:21], v[20:21], v[50:51]
	s_waitcnt vmcnt(1)
	v_add_f64 v[20:21], v[20:21], v[52:53]
	v_add_f64 v[28:29], v[28:29], v[82:83]
	v_fma_f64 v[20:21], v[20:21], s[14:15], -v[10:11]
	s_waitcnt vmcnt(0)
	v_add_f64 v[28:29], v[28:29], v[80:81]
	v_mul_f64 v[20:21], v[8:9], v[20:21]
	v_fma_f64 v[28:29], v[28:29], s[14:15], -v[6:7]
	ds_write2_b64 v58, v[30:31], v[20:21] offset0:1 offset1:11
	ds_write_b64 v58, v[28:29] offset:168
	s_and_saveexec_b64 s[6:7], vcc
	s_xor_b64 s[6:7], exec, s[6:7]
	s_cbranch_execz .LBB0_316
; %bb.311:                              ;   in Loop: Header=BB0_292 Depth=1
	v_cmp_lt_i32_e32 vcc, 2, v27
	s_and_saveexec_b64 s[8:9], vcc
	s_xor_b64 s[8:9], exec, s[8:9]
; %bb.312:                              ;   in Loop: Header=BB0_292 Depth=1
                                        ; implicit-def: $vgpr24
; %bb.313:                              ;   in Loop: Header=BB0_292 Depth=1
	s_or_saveexec_b64 s[8:9], s[8:9]
	v_mov_b32_e32 v23, v25
	s_xor_b64 exec, exec, s[8:9]
; %bb.314:                              ;   in Loop: Header=BB0_292 Depth=1
	v_mov_b32_e32 v23, v24
	v_mov_b32_e32 v22, v25
; %bb.315:                              ;   in Loop: Header=BB0_292 Depth=1
	s_or_b64 exec, exec, s[8:9]
                                        ; implicit-def: $vgpr26
                                        ; implicit-def: $vgpr24
                                        ; implicit-def: $vgpr27
.LBB0_316:                              ;   in Loop: Header=BB0_292 Depth=1
	s_andn2_saveexec_b64 s[6:7], s[6:7]
	s_cbranch_execz .LBB0_320
; %bb.317:                              ;   in Loop: Header=BB0_292 Depth=1
	v_cmp_eq_u32_e32 vcc, 1, v27
	s_and_saveexec_b64 s[8:9], vcc
; %bb.318:                              ;   in Loop: Header=BB0_292 Depth=1
	v_mov_b32_e32 v22, v26
	v_mov_b32_e32 v26, v24
; %bb.319:                              ;   in Loop: Header=BB0_292 Depth=1
	s_or_b64 exec, exec, s[8:9]
	v_mov_b32_e32 v23, v22
	v_mov_b32_e32 v22, v26
.LBB0_320:                              ;   in Loop: Header=BB0_292 Depth=1
	s_or_b64 exec, exec, s[6:7]
	v_lshl_add_u32 v43, v23, 3, v66
	buffer_load_dword v24, v43, s[0:3], 0 offen
	buffer_load_dword v25, v43, s[0:3], 0 offen offset:4
	v_lshl_add_u32 v46, v22, 3, v66
	buffer_load_dword v22, v46, s[0:3], 0 offen
	buffer_load_dword v23, v46, s[0:3], 0 offen offset:4
	buffer_load_dword v26, v43, s[0:3], 0 offen offset:128
	;; [unrolled: 1-line block ×9, first 2 shown]
	s_mov_b64 s[6:7], 0
                                        ; implicit-def: $sgpr22
                                        ; implicit-def: $sgpr23
                                        ; implicit-def: $sgpr20
	s_waitcnt vmcnt(8)
	v_add_f64 v[22:23], v[22:23], -v[2:3]
	s_waitcnt vmcnt(5)
	v_add_f64 v[28:29], v[28:29], -v[10:11]
	;; [unrolled: 2-line block ×3, first 2 shown]
	v_add_f64 v[46:47], v[24:25], -v[2:3]
	s_waitcnt vmcnt(1)
	v_add_f64 v[24:25], v[26:27], -v[6:7]
	s_waitcnt vmcnt(0)
	v_add_f64 v[26:27], v[30:31], -v[6:7]
	v_mul_f64 v[30:31], v[34:35], v[46:47]
	v_mul_f64 v[46:47], v[8:9], v[28:29]
	;; [unrolled: 1-line block ×4, first 2 shown]
	v_cmp_ngt_f64_e32 vcc, 1.0, v[46:47]
	ds_write2_b64 v58, v[24:25], v[26:27] offset0:20 offset1:22
	ds_write2_b64 v58, v[30:31], v[44:45] offset1:2
	ds_write2_b64 v58, v[46:47], v[22:23] offset0:10 offset1:12
                                        ; implicit-def: $vgpr28_vgpr29
	s_and_saveexec_b64 s[8:9], vcc
	s_xor_b64 s[8:9], exec, s[8:9]
	s_cbranch_execz .LBB0_324
; %bb.321:                              ;   in Loop: Header=BB0_292 Depth=1
	v_cmp_gt_f64_e32 vcc, 1.0, v[22:23]
                                        ; implicit-def: $sgpr22
                                        ; implicit-def: $sgpr23
                                        ; implicit-def: $vgpr28_vgpr29
	s_and_saveexec_b64 s[20:21], vcc
	s_xor_b64 s[20:21], exec, s[20:21]
	s_cbranch_execz .LBB0_323
; %bb.322:                              ;   in Loop: Header=BB0_292 Depth=1
	v_add_f64 v[28:29], v[46:47], -v[22:23]
	v_add_f64 v[46:47], -v[22:23], 1.0
	v_div_scale_f64 v[48:49], s[22:23], v[28:29], v[28:29], v[46:47]
	v_rcp_f64_e32 v[50:51], v[48:49]
	v_add_f64 v[30:31], v[30:31], -v[44:45]
	s_mov_b64 s[6:7], exec
	v_mov_b32_e32 v43, v79
	v_fma_f64 v[52:53], -v[48:49], v[50:51], 1.0
	v_fmac_f64_e32 v[50:51], v[50:51], v[52:53]
	v_fma_f64 v[52:53], -v[48:49], v[50:51], 1.0
	v_fmac_f64_e32 v[50:51], v[50:51], v[52:53]
	v_div_scale_f64 v[52:53], vcc, v[46:47], v[28:29], v[46:47]
	v_mul_f64 v[54:55], v[52:53], v[50:51]
	v_fma_f64 v[48:49], -v[48:49], v[54:55], v[52:53]
	s_mov_b32 s23, 9
	s_nop 0
	v_div_fmas_f64 v[48:49], v[48:49], v[50:51], v[54:55]
	v_div_fixup_f64 v[28:29], v[48:49], v[28:29], v[46:47]
	v_fmac_f64_e32 v[44:45], v[30:31], v[28:29]
	s_mov_b32 s22, 8
	ds_write2_b64 v58, v[44:45], v[42:43] offset0:9 offset1:19
.LBB0_323:                              ;   in Loop: Header=BB0_292 Depth=1
	s_or_b64 exec, exec, s[20:21]
	s_mov_b32 s20, 9
	s_and_b64 s[6:7], s[6:7], exec
                                        ; implicit-def: $vgpr30_vgpr31
                                        ; implicit-def: $vgpr46_vgpr47
                                        ; implicit-def: $vgpr44_vgpr45
.LBB0_324:                              ;   in Loop: Header=BB0_292 Depth=1
	s_or_saveexec_b64 s[8:9], s[8:9]
	v_mov_b32_e32 v43, s22
	v_mov_b32_e32 v49, s23
	;; [unrolled: 1-line block ×3, first 2 shown]
	s_xor_b64 exec, exec, s[8:9]
	s_cbranch_execz .LBB0_328
; %bb.325:                              ;   in Loop: Header=BB0_292 Depth=1
	v_cmp_le_f64_e32 vcc, 1.0, v[22:23]
	s_mov_b64 s[22:23], s[6:7]
	ds_write2_b64 v58, v[30:31], v[46:47] offset0:9 offset1:19
	ds_write_b64 v58, v[24:25] offset:232
                                        ; implicit-def: $sgpr25
                                        ; implicit-def: $sgpr24
                                        ; implicit-def: $vgpr28_vgpr29
	s_and_saveexec_b64 s[20:21], vcc
	s_cbranch_execz .LBB0_327
; %bb.326:                              ;   in Loop: Header=BB0_292 Depth=1
	v_add_f64 v[28:29], v[22:23], -v[46:47]
	v_add_f64 v[46:47], -v[46:47], 1.0
	v_div_scale_f64 v[48:49], s[22:23], v[28:29], v[28:29], v[46:47]
	v_rcp_f64_e32 v[50:51], v[48:49]
	v_add_f64 v[44:45], v[44:45], -v[30:31]
	v_mov_b32_e32 v43, v79
	s_mov_b32 s24, 8
	v_fma_f64 v[52:53], -v[48:49], v[50:51], 1.0
	v_fmac_f64_e32 v[50:51], v[50:51], v[52:53]
	v_fma_f64 v[52:53], -v[48:49], v[50:51], 1.0
	v_fmac_f64_e32 v[50:51], v[50:51], v[52:53]
	v_div_scale_f64 v[52:53], vcc, v[46:47], v[28:29], v[46:47]
	v_mul_f64 v[54:55], v[52:53], v[50:51]
	v_fma_f64 v[48:49], -v[48:49], v[54:55], v[52:53]
	s_mov_b32 s25, 7
	s_nop 0
	v_div_fmas_f64 v[48:49], v[48:49], v[50:51], v[54:55]
	v_div_fixup_f64 v[28:29], v[48:49], v[28:29], v[46:47]
	v_fmac_f64_e32 v[30:31], v[44:45], v[28:29]
	s_or_b64 s[22:23], s[6:7], exec
	ds_write2_b64 v58, v[30:31], v[42:43] offset0:8 offset1:18
.LBB0_327:                              ;   in Loop: Header=BB0_292 Depth=1
	s_or_b64 exec, exec, s[20:21]
	v_pk_mov_b32 v[30:31], v[26:27], v[26:27] op_sel:[0,1]
	s_andn2_b64 s[6:7], s[6:7], exec
	s_and_b64 s[20:21], s[22:23], exec
	v_mov_b32_e32 v43, s25
	v_mov_b32_e32 v49, s24
	;; [unrolled: 1-line block ×3, first 2 shown]
	s_or_b64 s[6:7], s[6:7], s[20:21]
	v_pk_mov_b32 v[26:27], v[24:25], v[24:25] op_sel:[0,1]
	v_pk_mov_b32 v[24:25], v[30:31], v[30:31] op_sel:[0,1]
.LBB0_328:                              ;   in Loop: Header=BB0_292 Depth=1
	s_or_b64 exec, exec, s[8:9]
	s_and_saveexec_b64 s[8:9], s[6:7]
	s_cbranch_execz .LBB0_330
; %bb.329:                              ;   in Loop: Header=BB0_292 Depth=1
	v_add_f64 v[24:25], v[24:25], -v[26:27]
	v_fmac_f64_e32 v[26:27], v[28:29], v[24:25]
	v_lshl_add_u32 v24, v49, 3, v67
	v_mov_b32_e32 v48, v43
	ds_write_b64 v24, v[26:27]
.LBB0_330:                              ;   in Loop: Header=BB0_292 Depth=1
	s_or_b64 exec, exec, s[8:9]
	v_cmp_ngt_f64_e32 vcc, 1.0, v[22:23]
	s_mov_b64 s[6:7], 0
                                        ; implicit-def: $sgpr23
                                        ; implicit-def: $sgpr22
                                        ; implicit-def: $vgpr29
                                        ; implicit-def: $vgpr30
                                        ; implicit-def: $vgpr31
                                        ; implicit-def: $vgpr28
                                        ; implicit-def: $vgpr26_vgpr27
                                        ; implicit-def: $vgpr24_vgpr25
	s_and_saveexec_b64 s[8:9], vcc
	s_xor_b64 s[8:9], exec, s[8:9]
	s_cbranch_execz .LBB0_334
; %bb.331:                              ;   in Loop: Header=BB0_292 Depth=1
	v_cmp_gt_f64_e32 vcc, 1.0, v[20:21]
                                        ; implicit-def: $sgpr23
                                        ; implicit-def: $sgpr22
                                        ; implicit-def: $vgpr26_vgpr27
	s_and_saveexec_b64 s[20:21], vcc
; %bb.332:                              ;   in Loop: Header=BB0_292 Depth=1
	s_mov_b64 s[6:7], exec
	v_add_f64 v[26:27], v[22:23], -v[20:21]
	s_mov_b32 s22, 2
	s_mov_b32 s23, -1
; %bb.333:                              ;   in Loop: Header=BB0_292 Depth=1
	s_or_b64 exec, exec, s[20:21]
	s_and_b64 s[6:7], s[6:7], exec
	v_mov_b32_e32 v29, v70
	v_mov_b32_e32 v30, v71
	v_mov_b32_e32 v31, v69
	v_mov_b32_e32 v28, v48
	v_pk_mov_b32 v[24:25], v[20:21], v[20:21] op_sel:[0,1]
                                        ; implicit-def: $vgpr22_vgpr23
.LBB0_334:                              ;   in Loop: Header=BB0_292 Depth=1
	s_or_saveexec_b64 s[8:9], s[8:9]
	v_mov_b32_e32 v44, s23
	v_mov_b32_e32 v45, s22
	s_xor_b64 exec, exec, s[8:9]
	s_cbranch_execz .LBB0_338
; %bb.335:                              ;   in Loop: Header=BB0_292 Depth=1
	v_lshl_add_u32 v24, v48, 3, v58
	ds_write_b64 v24, v[22:23] offset:80
	ds_read_b64 v[20:21], v58 offset:16
	v_add_u32_e32 v28, -1, v48
	s_mov_b64 s[20:21], s[6:7]
                                        ; implicit-def: $sgpr25
                                        ; implicit-def: $sgpr24
                                        ; implicit-def: $vgpr26_vgpr27
	s_waitcnt lgkmcnt(0)
	ds_write_b64 v24, v[20:21]
	ds_read_b64 v[20:21], v58 offset:176
	s_waitcnt lgkmcnt(0)
	ds_write_b64 v24, v[20:21] offset:160
	ds_read_b64 v[24:25], v58 offset:88
                                        ; implicit-def: $vgpr20_vgpr21
	s_waitcnt lgkmcnt(0)
	v_cmp_le_f64_e32 vcc, 1.0, v[24:25]
	s_and_saveexec_b64 s[22:23], vcc
	s_cbranch_execz .LBB0_337
; %bb.336:                              ;   in Loop: Header=BB0_292 Depth=1
	ds_read_b64 v[20:21], v58 offset:96
	s_mov_b32 s24, 1
	s_mov_b32 s25, -2
	s_or_b64 s[20:21], s[6:7], exec
	s_waitcnt lgkmcnt(0)
	v_add_f64 v[26:27], v[24:25], -v[20:21]
                                        ; implicit-def: $vgpr24_vgpr25
.LBB0_337:                              ;   in Loop: Header=BB0_292 Depth=1
	s_or_b64 exec, exec, s[22:23]
	s_andn2_b64 s[6:7], s[6:7], exec
	s_and_b64 s[20:21], s[20:21], exec
	v_mov_b32_e32 v44, s25
	v_mov_b32_e32 v45, s24
	s_or_b64 s[6:7], s[6:7], s[20:21]
	v_mov_b32_e32 v29, v72
	v_mov_b32_e32 v30, v69
	v_mov_b32_e32 v31, v71
.LBB0_338:                              ;   in Loop: Header=BB0_292 Depth=1
	s_or_b64 exec, exec, s[8:9]
	s_and_saveexec_b64 s[8:9], s[6:7]
	s_cbranch_execz .LBB0_340
; %bb.339:                              ;   in Loop: Header=BB0_292 Depth=1
	v_add_f64 v[20:21], -v[20:21], 1.0
	v_div_scale_f64 v[22:23], s[6:7], v[26:27], v[26:27], v[20:21]
	v_rcp_f64_e32 v[24:25], v[22:23]
	v_lshl_add_u32 v28, v28, 3, v58
	v_mov_b32_e32 v43, v79
	ds_write_b64 v28, v[42:43] offset:80
	v_fma_f64 v[50:51], -v[22:23], v[24:25], 1.0
	v_fmac_f64_e32 v[24:25], v[24:25], v[50:51]
	v_fma_f64 v[50:51], -v[22:23], v[24:25], 1.0
	ds_read_b64 v[52:53], v31
	ds_read_b64 v[30:31], v30
	v_div_scale_f64 v[46:47], vcc, v[20:21], v[26:27], v[20:21]
	v_fmac_f64_e32 v[24:25], v[24:25], v[50:51]
	v_mul_f64 v[50:51], v[46:47], v[24:25]
	v_fma_f64 v[22:23], -v[22:23], v[50:51], v[46:47]
	s_nop 0
	v_div_fmas_f64 v[22:23], v[22:23], v[24:25], v[50:51]
	v_div_fixup_f64 v[20:21], v[22:23], v[26:27], v[20:21]
	s_waitcnt lgkmcnt(0)
	v_add_f64 v[22:23], v[30:31], -v[52:53]
	v_fmac_f64_e32 v[52:53], v[20:21], v[22:23]
	ds_write_b64 v28, v[52:53]
	v_lshl_add_u32 v24, v45, 3, v67
	ds_read_b64 v[22:23], v29
	ds_read_b64 v[24:25], v24
	s_waitcnt lgkmcnt(0)
	v_add_f64 v[24:25], v[24:25], -v[22:23]
	v_fmac_f64_e32 v[22:23], v[20:21], v[24:25]
	ds_write_b64 v28, v[22:23] offset:160
	ds_read_b64 v[24:25], v58 offset:88
	v_add_u32_e32 v28, v44, v48
.LBB0_340:                              ;   in Loop: Header=BB0_292 Depth=1
	s_or_b64 exec, exec, s[8:9]
	s_waitcnt lgkmcnt(0)
	v_cmp_ngt_f64_e32 vcc, 1.0, v[24:25]
	s_mov_b64 s[6:7], 0
                                        ; implicit-def: $sgpr23
                                        ; implicit-def: $sgpr22
                                        ; implicit-def: $vgpr27
                                        ; implicit-def: $vgpr29
                                        ; implicit-def: $vgpr30
                                        ; implicit-def: $vgpr26
                                        ; implicit-def: $vgpr20_vgpr21
                                        ; implicit-def: $vgpr22_vgpr23
	s_and_saveexec_b64 s[8:9], vcc
	s_xor_b64 s[8:9], exec, s[8:9]
	s_cbranch_execz .LBB0_344
; %bb.341:                              ;   in Loop: Header=BB0_292 Depth=1
	ds_read_b64 v[22:23], v68
                                        ; implicit-def: $sgpr23
                                        ; implicit-def: $sgpr22
                                        ; implicit-def: $vgpr20_vgpr21
	s_waitcnt lgkmcnt(0)
	v_cmp_gt_f64_e32 vcc, 1.0, v[22:23]
	s_and_saveexec_b64 s[20:21], vcc
; %bb.342:                              ;   in Loop: Header=BB0_292 Depth=1
	s_mov_b64 s[6:7], exec
	v_add_f64 v[20:21], v[24:25], -v[22:23]
	s_mov_b32 s22, 1
	s_mov_b32 s23, -1
; %bb.343:                              ;   in Loop: Header=BB0_292 Depth=1
	s_or_b64 exec, exec, s[20:21]
	s_and_b64 s[6:7], s[6:7], exec
	v_mov_b32_e32 v27, v67
	v_mov_b32_e32 v29, v69
	;; [unrolled: 1-line block ×4, first 2 shown]
                                        ; implicit-def: $vgpr24_vgpr25
.LBB0_344:                              ;   in Loop: Header=BB0_292 Depth=1
	s_or_saveexec_b64 s[8:9], s[8:9]
	v_mov_b32_e32 v31, s23
	v_mov_b32_e32 v44, s22
	s_xor_b64 exec, exec, s[8:9]
	s_cbranch_execz .LBB0_348
; %bb.345:                              ;   in Loop: Header=BB0_292 Depth=1
	v_lshl_add_u32 v22, v28, 3, v58
	ds_write_b64 v22, v[24:25] offset:80
	ds_read_b64 v[20:21], v58 offset:8
	v_add_u32_e32 v26, -1, v28
	s_mov_b64 s[20:21], s[6:7]
                                        ; implicit-def: $sgpr25
                                        ; implicit-def: $sgpr24
	s_waitcnt lgkmcnt(0)
	ds_write_b64 v22, v[20:21]
	ds_read_b64 v[20:21], v58 offset:168
	s_waitcnt lgkmcnt(0)
	ds_write_b64 v22, v[20:21] offset:160
	ds_read_b64 v[24:25], v58 offset:80
                                        ; implicit-def: $vgpr20_vgpr21
                                        ; implicit-def: $vgpr22_vgpr23
	s_waitcnt lgkmcnt(0)
	v_cmp_le_f64_e32 vcc, 1.0, v[24:25]
	s_and_saveexec_b64 s[22:23], vcc
	s_cbranch_execz .LBB0_347
; %bb.346:                              ;   in Loop: Header=BB0_292 Depth=1
	ds_read_b64 v[22:23], v58 offset:88
	s_mov_b32 s24, 0
	s_mov_b32 s25, -2
	s_or_b64 s[20:21], s[6:7], exec
	s_waitcnt lgkmcnt(0)
	v_add_f64 v[20:21], v[24:25], -v[22:23]
.LBB0_347:                              ;   in Loop: Header=BB0_292 Depth=1
	s_or_b64 exec, exec, s[22:23]
	s_andn2_b64 s[6:7], s[6:7], exec
	s_and_b64 s[20:21], s[20:21], exec
	v_mov_b32_e32 v31, s25
	v_mov_b32_e32 v44, s24
	s_or_b64 s[6:7], s[6:7], s[20:21]
	v_mov_b32_e32 v27, v70
	v_mov_b32_e32 v29, v58
	;; [unrolled: 1-line block ×3, first 2 shown]
.LBB0_348:                              ;   in Loop: Header=BB0_292 Depth=1
	s_or_b64 exec, exec, s[8:9]
	s_and_saveexec_b64 s[8:9], s[6:7]
	s_cbranch_execz .LBB0_350
; %bb.349:                              ;   in Loop: Header=BB0_292 Depth=1
	v_add_f64 v[22:23], -v[22:23], 1.0
	v_div_scale_f64 v[24:25], s[6:7], v[20:21], v[20:21], v[22:23]
	v_rcp_f64_e32 v[46:47], v[24:25]
	v_lshl_add_u32 v26, v26, 3, v58
	v_mov_b32_e32 v43, v79
	ds_write_b64 v26, v[42:43] offset:80
	v_fma_f64 v[50:51], -v[24:25], v[46:47], 1.0
	v_fmac_f64_e32 v[46:47], v[46:47], v[50:51]
	v_fma_f64 v[50:51], -v[24:25], v[46:47], 1.0
	ds_read_b64 v[52:53], v30
	ds_read_b64 v[54:55], v29
	v_div_scale_f64 v[48:49], vcc, v[22:23], v[20:21], v[22:23]
	v_fmac_f64_e32 v[46:47], v[46:47], v[50:51]
	v_mul_f64 v[50:51], v[48:49], v[46:47]
	v_fma_f64 v[24:25], -v[24:25], v[50:51], v[48:49]
	s_nop 0
	v_div_fmas_f64 v[24:25], v[24:25], v[46:47], v[50:51]
	v_div_fixup_f64 v[20:21], v[24:25], v[20:21], v[22:23]
	s_waitcnt lgkmcnt(0)
	v_add_f64 v[22:23], v[54:55], -v[52:53]
	v_fmac_f64_e32 v[52:53], v[20:21], v[22:23]
	ds_write_b64 v26, v[52:53]
	v_lshl_add_u32 v24, v44, 3, v67
	ds_read_b64 v[22:23], v27
	ds_read_b64 v[24:25], v24
	s_waitcnt lgkmcnt(0)
	v_add_f64 v[24:25], v[24:25], -v[22:23]
	v_fmac_f64_e32 v[22:23], v[20:21], v[24:25]
	ds_write_b64 v26, v[22:23] offset:160
	v_add_u32_e32 v26, v31, v28
.LBB0_350:                              ;   in Loop: Header=BB0_292 Depth=1
	s_or_b64 exec, exec, s[8:9]
	v_add_u32_e32 v20, 1, v26
	v_cmp_ne_u32_e32 vcc, 10, v20
	v_mov_b32_e32 v45, 0
	s_and_saveexec_b64 s[6:7], vcc
	s_cbranch_execz .LBB0_364
; %bb.351:                              ;   in Loop: Header=BB0_292 Depth=1
	v_add_co_u32_e32 v22, vcc, -9, v26
	v_addc_co_u32_e64 v23, s[8:9], 0, -1, vcc
	v_mov_b32_e32 v21, v42
	v_lshl_add_u32 v44, v26, 3, v58
	s_mov_b64 s[8:9], 0
	v_mov_b32_e32 v24, 9
	v_mov_b32_e32 v45, 0
	;; [unrolled: 1-line block ×3, first 2 shown]
	s_branch .LBB0_353
.LBB0_352:                              ;   in Loop: Header=BB0_353 Depth=2
	s_or_b64 exec, exec, s[22:23]
	v_add_co_u32_e32 v26, vcc, 1, v20
	v_addc_co_u32_e32 v27, vcc, 0, v21, vcc
	v_add_co_u32_e32 v22, vcc, 1, v22
	v_addc_co_u32_e32 v23, vcc, 0, v23, vcc
	v_cmp_eq_u64_e32 vcc, 0, v[22:23]
	v_add_u32_e32 v44, 8, v44
	s_or_b64 s[8:9], vcc, s[8:9]
	v_pk_mov_b32 v[24:25], v[20:21], v[20:21] op_sel:[0,1]
	v_pk_mov_b32 v[20:21], v[26:27], v[26:27] op_sel:[0,1]
	s_andn2_b64 exec, exec, s[8:9]
	s_cbranch_execz .LBB0_363
.LBB0_353:                              ;   Parent Loop BB0_292 Depth=1
                                        ; =>  This Inner Loop Header: Depth=2
	v_lshl_add_u32 v46, v24, 3, v58
	ds_read_b64 v[28:29], v46 offset:80
	s_mov_b64 s[20:21], 0
                                        ; implicit-def: $vgpr30
                                        ; implicit-def: $vgpr26_vgpr27
                                        ; implicit-def: $vgpr25
	s_waitcnt lgkmcnt(0)
	v_cmp_le_f64_e32 vcc, 0, v[28:29]
	s_and_saveexec_b64 s[22:23], vcc
	s_xor_b64 s[22:23], exec, s[22:23]
	s_cbranch_execnz .LBB0_356
; %bb.354:                              ;   in Loop: Header=BB0_353 Depth=2
	s_andn2_saveexec_b64 s[22:23], s[22:23]
	s_cbranch_execnz .LBB0_359
.LBB0_355:                              ;   in Loop: Header=BB0_353 Depth=2
	s_or_b64 exec, exec, s[22:23]
	s_and_saveexec_b64 s[22:23], s[20:21]
	s_cbranch_execz .LBB0_352
	s_branch .LBB0_362
.LBB0_356:                              ;   in Loop: Header=BB0_353 Depth=2
	v_lshl_add_u32 v31, v45, 3, v58
	ds_write_b64 v31, v[28:29] offset:80
	ds_read_b64 v[24:25], v46
	v_add_u32_e32 v30, 1, v45
                                        ; implicit-def: $vgpr26_vgpr27
	s_waitcnt lgkmcnt(0)
	ds_write_b64 v31, v[24:25]
	ds_read_b64 v[24:25], v46 offset:160
	s_waitcnt lgkmcnt(0)
	ds_write_b64 v31, v[24:25] offset:160
	ds_read_b64 v[28:29], v44 offset:88
                                        ; implicit-def: $vgpr25
                                        ; implicit-def: $vgpr24
	s_waitcnt lgkmcnt(0)
	v_cmp_gt_f64_e32 vcc, 0, v[28:29]
	s_and_saveexec_b64 s[24:25], vcc
	s_cbranch_execz .LBB0_358
; %bb.357:                              ;   in Loop: Header=BB0_353 Depth=2
	ds_read_b64 v[26:27], v46 offset:80
	v_add_f64 v[48:49], -v[28:29], 0
	v_lshl_add_u32 v45, v45, 3, v73
	v_mov_b32_e32 v43, v42
	ds_write_b64 v45, v[42:43]
	s_waitcnt lgkmcnt(1)
	v_add_f64 v[26:27], v[26:27], -v[28:29]
	v_div_scale_f64 v[28:29], s[26:27], v[26:27], v[26:27], v[48:49]
	v_rcp_f64_e32 v[50:51], v[28:29]
	v_add_u32_e32 v25, 0xa0, v46
	ds_read_b64 v[56:57], v44 offset:8
	ds_read_b64 v[46:47], v46
	v_div_scale_f64 v[52:53], vcc, v[48:49], v[26:27], v[48:49]
	v_fma_f64 v[54:55], -v[28:29], v[50:51], 1.0
	v_fmac_f64_e32 v[50:51], v[50:51], v[54:55]
	v_fma_f64 v[54:55], -v[28:29], v[50:51], 1.0
	v_fmac_f64_e32 v[50:51], v[50:51], v[54:55]
	v_mul_f64 v[54:55], v[52:53], v[50:51]
	v_fma_f64 v[28:29], -v[28:29], v[54:55], v[52:53]
	v_div_fmas_f64 v[28:29], v[28:29], v[50:51], v[54:55]
	v_div_fixup_f64 v[26:27], v[28:29], v[26:27], v[48:49]
	s_waitcnt lgkmcnt(0)
	v_add_f64 v[28:29], v[46:47], -v[56:57]
	s_mov_b64 s[20:21], exec
	v_add_u32_e32 v24, 10, v22
	v_fmac_f64_e32 v[56:57], v[26:27], v[28:29]
	ds_write_b64 v31, v[56:57] offset:8
.LBB0_358:                              ;   in Loop: Header=BB0_353 Depth=2
	s_or_b64 exec, exec, s[24:25]
	s_and_b64 s[20:21], s[20:21], exec
	v_mov_b32_e32 v45, v30
                                        ; implicit-def: $vgpr28_vgpr29
                                        ; implicit-def: $vgpr46
	s_andn2_saveexec_b64 s[22:23], s[22:23]
	s_cbranch_execz .LBB0_355
.LBB0_359:                              ;   in Loop: Header=BB0_353 Depth=2
	ds_read_b64 v[30:31], v44 offset:88
	s_mov_b64 s[26:27], s[20:21]
                                        ; implicit-def: $vgpr26_vgpr27
                                        ; implicit-def: $vgpr25
	s_waitcnt lgkmcnt(0)
	v_cmp_le_f64_e32 vcc, 0, v[30:31]
	s_and_saveexec_b64 s[24:25], vcc
	s_cbranch_execz .LBB0_361
; %bb.360:                              ;   in Loop: Header=BB0_353 Depth=2
	v_add_f64 v[26:27], v[30:31], -v[28:29]
	v_add_f64 v[28:29], -v[28:29], 0
	v_div_scale_f64 v[30:31], s[26:27], v[26:27], v[26:27], v[28:29]
	v_rcp_f64_e32 v[48:49], v[30:31]
	v_lshl_add_u32 v25, v45, 3, v58
	v_mov_b32_e32 v43, v42
	ds_write_b64 v25, v[42:43] offset:80
	v_fma_f64 v[50:51], -v[30:31], v[48:49], 1.0
	v_fmac_f64_e32 v[48:49], v[48:49], v[50:51]
	v_fma_f64 v[50:51], -v[30:31], v[48:49], 1.0
	ds_read_b64 v[46:47], v46
	ds_read_b64 v[54:55], v44 offset:8
	v_fmac_f64_e32 v[48:49], v[48:49], v[50:51]
	v_div_scale_f64 v[50:51], vcc, v[28:29], v[26:27], v[28:29]
	v_mul_f64 v[52:53], v[50:51], v[48:49]
	v_fma_f64 v[30:31], -v[30:31], v[52:53], v[50:51]
	s_or_b64 s[26:27], s[20:21], exec
	s_nop 0
	v_div_fmas_f64 v[30:31], v[30:31], v[48:49], v[52:53]
	v_div_fixup_f64 v[26:27], v[30:31], v[26:27], v[28:29]
	s_waitcnt lgkmcnt(0)
	v_add_f64 v[28:29], v[54:55], -v[46:47]
	v_fmac_f64_e32 v[46:47], v[26:27], v[28:29]
	ds_write_b64 v25, v[46:47]
	v_add_u32_e32 v25, 0xa8, v44
.LBB0_361:                              ;   in Loop: Header=BB0_353 Depth=2
	s_or_b64 exec, exec, s[24:25]
	s_andn2_b64 s[20:21], s[20:21], exec
	s_and_b64 s[24:25], s[26:27], exec
	s_or_b64 s[20:21], s[20:21], s[24:25]
	v_mov_b32_e32 v30, v45
	s_or_b64 exec, exec, s[22:23]
	s_and_saveexec_b64 s[22:23], s[20:21]
	s_cbranch_execz .LBB0_352
.LBB0_362:                              ;   in Loop: Header=BB0_353 Depth=2
	v_lshl_add_u32 v28, v24, 3, v67
	ds_read_b64 v[24:25], v25
	ds_read_b64 v[28:29], v28
	v_lshl_add_u32 v31, v30, 3, v67
	v_add_u32_e32 v45, 1, v30
	s_waitcnt lgkmcnt(0)
	v_add_f64 v[24:25], v[24:25], -v[28:29]
	v_fmac_f64_e32 v[28:29], v[26:27], v[24:25]
	ds_write_b64 v31, v[28:29]
	s_branch .LBB0_352
.LBB0_363:                              ;   in Loop: Header=BB0_292 Depth=1
	s_or_b64 exec, exec, s[8:9]
.LBB0_364:                              ;   in Loop: Header=BB0_292 Depth=1
	s_or_b64 exec, exec, s[6:7]
	v_cmp_ne_u32_e32 vcc, 0, v45
	v_mov_b32_e32 v22, 0
	s_and_saveexec_b64 s[6:7], vcc
	s_cbranch_execz .LBB0_378
; %bb.365:                              ;   in Loop: Header=BB0_292 Depth=1
	v_add_u32_e32 v20, -1, v45
	v_ashrrev_i32_e32 v21, 31, v20
	v_add_co_u32_e32 v22, vcc, 1, v20
	v_pk_mov_b32 v[24:25], 0, 0
	v_addc_co_u32_e32 v23, vcc, 0, v21, vcc
	v_lshl_add_u32 v44, v45, 3, v74
	s_mov_b64 s[8:9], 0
	v_mov_b32_e32 v25, 9
	s_branch .LBB0_367
.LBB0_366:                              ;   in Loop: Header=BB0_367 Depth=2
	s_or_b64 exec, exec, s[22:23]
	v_add_co_u32_e32 v26, vcc, -1, v20
	v_addc_co_u32_e32 v27, vcc, -1, v21, vcc
	v_add_co_u32_e32 v22, vcc, -1, v22
	v_addc_co_u32_e32 v23, vcc, -1, v23, vcc
	v_cmp_eq_u64_e32 vcc, 0, v[22:23]
	v_pk_mov_b32 v[24:25], v[20:21], v[20:21] op_sel:[0,1]
	v_add_u32_e32 v44, -8, v44
	s_or_b64 s[8:9], vcc, s[8:9]
	v_mov_b32_e32 v25, v30
	v_pk_mov_b32 v[20:21], v[26:27], v[26:27] op_sel:[0,1]
	s_andn2_b64 exec, exec, s[8:9]
	s_cbranch_execz .LBB0_377
.LBB0_367:                              ;   Parent Loop BB0_292 Depth=1
                                        ; =>  This Inner Loop Header: Depth=2
	v_lshl_add_u32 v46, v24, 3, v58
	ds_read_b64 v[28:29], v46
	s_mov_b64 s[20:21], 0
                                        ; implicit-def: $sgpr26
                                        ; implicit-def: $vgpr30
                                        ; implicit-def: $vgpr26_vgpr27
                                        ; implicit-def: $vgpr45
	s_waitcnt lgkmcnt(0)
	v_cmp_ngt_f64_e32 vcc, 1.0, v[28:29]
	s_and_saveexec_b64 s[22:23], vcc
	s_xor_b64 s[22:23], exec, s[22:23]
	s_cbranch_execnz .LBB0_370
; %bb.368:                              ;   in Loop: Header=BB0_367 Depth=2
	s_or_saveexec_b64 s[22:23], s[22:23]
	v_mov_b32_e32 v31, s26
	s_xor_b64 exec, exec, s[22:23]
	s_cbranch_execnz .LBB0_373
.LBB0_369:                              ;   in Loop: Header=BB0_367 Depth=2
	s_or_b64 exec, exec, s[22:23]
	s_and_saveexec_b64 s[22:23], s[20:21]
	s_cbranch_execz .LBB0_366
	s_branch .LBB0_376
.LBB0_370:                              ;   in Loop: Header=BB0_367 Depth=2
	ds_read_b64 v[30:31], v44
                                        ; implicit-def: $sgpr26
                                        ; implicit-def: $vgpr26_vgpr27
                                        ; implicit-def: $vgpr45
	s_waitcnt lgkmcnt(0)
	v_cmp_gt_f64_e32 vcc, 1.0, v[30:31]
	s_and_saveexec_b64 s[24:25], vcc
	s_xor_b64 s[24:25], exec, s[24:25]
	s_cbranch_execz .LBB0_372
; %bb.371:                              ;   in Loop: Header=BB0_367 Depth=2
	v_add_f64 v[26:27], v[28:29], -v[30:31]
	v_add_f64 v[28:29], -v[30:31], 1.0
	v_div_scale_f64 v[30:31], s[26:27], v[26:27], v[26:27], v[28:29]
	v_rcp_f64_e32 v[48:49], v[30:31]
	v_lshl_add_u32 v45, v25, 3, v58
	v_mov_b32_e32 v43, v79
	ds_write_b64 v45, v[42:43]
	v_fma_f64 v[50:51], -v[30:31], v[48:49], 1.0
	v_fmac_f64_e32 v[48:49], v[48:49], v[50:51]
	v_fma_f64 v[50:51], -v[30:31], v[48:49], 1.0
	ds_read_b64 v[54:55], v44 offset:80
	ds_read_b64 v[46:47], v46 offset:80
	v_fmac_f64_e32 v[48:49], v[48:49], v[50:51]
	v_div_scale_f64 v[50:51], vcc, v[28:29], v[26:27], v[28:29]
	v_mul_f64 v[52:53], v[50:51], v[48:49]
	v_fma_f64 v[30:31], -v[30:31], v[52:53], v[50:51]
	s_mov_b64 s[20:21], exec
	s_nop 0
	v_div_fmas_f64 v[30:31], v[30:31], v[48:49], v[52:53]
	v_div_fixup_f64 v[26:27], v[30:31], v[26:27], v[28:29]
	s_waitcnt lgkmcnt(0)
	v_add_f64 v[28:29], v[46:47], -v[54:55]
	v_fmac_f64_e32 v[54:55], v[26:27], v[28:29]
	ds_write_b64 v45, v[54:55] offset:80
	v_add_u32_e32 v45, 0xa0, v44
	s_mov_b32 s26, -1
.LBB0_372:                              ;   in Loop: Header=BB0_367 Depth=2
	s_or_b64 exec, exec, s[24:25]
	s_and_b64 s[20:21], s[20:21], exec
	v_mov_b32_e32 v30, v25
                                        ; implicit-def: $vgpr28_vgpr29
                                        ; implicit-def: $vgpr46
	s_or_saveexec_b64 s[22:23], s[22:23]
	v_mov_b32_e32 v31, s26
	s_xor_b64 exec, exec, s[22:23]
	s_cbranch_execz .LBB0_369
.LBB0_373:                              ;   in Loop: Header=BB0_367 Depth=2
	v_lshl_add_u32 v31, v25, 3, v58
	ds_write_b64 v31, v[28:29]
	ds_read_b64 v[26:27], v46 offset:80
	v_add_u32_e32 v30, -1, v25
	s_mov_b64 s[26:27], s[20:21]
                                        ; implicit-def: $sgpr28
                                        ; implicit-def: $vgpr45
                                        ; implicit-def: $vgpr24
	s_waitcnt lgkmcnt(0)
	ds_write_b64 v31, v[26:27] offset:80
	ds_read_b64 v[26:27], v46 offset:160
	s_waitcnt lgkmcnt(0)
	ds_write_b64 v31, v[26:27] offset:160
	ds_read_b64 v[28:29], v44
                                        ; implicit-def: $vgpr26_vgpr27
	s_waitcnt lgkmcnt(0)
	v_cmp_le_f64_e32 vcc, 1.0, v[28:29]
	s_and_saveexec_b64 s[24:25], vcc
	s_cbranch_execz .LBB0_375
; %bb.374:                              ;   in Loop: Header=BB0_367 Depth=2
	ds_read_b64 v[26:27], v46
	v_add_u32_e32 v24, -8, v31
	v_mov_b32_e32 v43, v79
	ds_write_b64 v24, v[42:43]
	v_add_u32_e32 v45, 0xa0, v46
	s_waitcnt lgkmcnt(1)
	v_add_f64 v[28:29], v[28:29], -v[26:27]
	v_add_f64 v[26:27], -v[26:27], 1.0
	v_div_scale_f64 v[48:49], s[26:27], v[28:29], v[28:29], v[26:27]
	v_rcp_f64_e32 v[50:51], v[48:49]
	ds_read_b64 v[46:47], v46 offset:80
	ds_read_b64 v[56:57], v44 offset:80
	v_div_scale_f64 v[52:53], vcc, v[26:27], v[28:29], v[26:27]
	v_fma_f64 v[54:55], -v[48:49], v[50:51], 1.0
	v_fmac_f64_e32 v[50:51], v[50:51], v[54:55]
	v_fma_f64 v[54:55], -v[48:49], v[50:51], 1.0
	v_fmac_f64_e32 v[50:51], v[50:51], v[54:55]
	v_mul_f64 v[54:55], v[52:53], v[50:51]
	v_fma_f64 v[48:49], -v[48:49], v[54:55], v[52:53]
	v_div_fmas_f64 v[48:49], v[48:49], v[50:51], v[54:55]
	v_div_fixup_f64 v[26:27], v[48:49], v[28:29], v[26:27]
	s_waitcnt lgkmcnt(0)
	v_add_f64 v[28:29], v[56:57], -v[46:47]
	v_fmac_f64_e32 v[46:47], v[26:27], v[28:29]
	s_mov_b32 s28, -2
	s_or_b64 s[26:27], s[20:21], exec
	v_mov_b32_e32 v24, v20
	ds_write_b64 v31, v[46:47] offset:72
.LBB0_375:                              ;   in Loop: Header=BB0_367 Depth=2
	s_or_b64 exec, exec, s[24:25]
	s_andn2_b64 s[20:21], s[20:21], exec
	s_and_b64 s[24:25], s[26:27], exec
	v_mov_b32_e32 v31, s28
	s_or_b64 s[20:21], s[20:21], s[24:25]
	s_or_b64 exec, exec, s[22:23]
	s_and_saveexec_b64 s[22:23], s[20:21]
	s_cbranch_execz .LBB0_366
.LBB0_376:                              ;   in Loop: Header=BB0_367 Depth=2
	v_lshl_add_u32 v24, v24, 3, v67
	ds_read_b64 v[28:29], v45
	ds_read_b64 v[46:47], v24
	v_lshl_add_u32 v24, v30, 3, v67
	v_add_u32_e32 v30, v31, v25
	s_waitcnt lgkmcnt(0)
	v_add_f64 v[46:47], v[46:47], -v[28:29]
	v_fmac_f64_e32 v[28:29], v[26:27], v[46:47]
	ds_write_b64 v24, v[28:29]
	s_branch .LBB0_366
.LBB0_377:                              ;   in Loop: Header=BB0_292 Depth=1
	s_or_b64 exec, exec, s[8:9]
	v_add_u32_e32 v22, -9, v30
.LBB0_378:                              ;   in Loop: Header=BB0_292 Depth=1
	s_or_b64 exec, exec, s[6:7]
	v_cmp_ne_u32_e32 vcc, 0, v22
	v_mov_b32_e32 v28, 0
	s_and_saveexec_b64 s[6:7], vcc
	s_cbranch_execz .LBB0_392
; %bb.379:                              ;   in Loop: Header=BB0_292 Depth=1
	v_add_u32_e32 v20, 10, v22
	v_ashrrev_i32_e32 v21, 31, v20
	v_lshl_add_u32 v29, v22, 3, v58
	v_add_co_u32_e32 v22, vcc, -10, v20
	v_addc_co_u32_e32 v23, vcc, -1, v21, vcc
	s_mov_b64 s[8:9], 0
	v_mov_b32_e32 v24, 9
	v_mov_b32_e32 v28, 0
	;; [unrolled: 1-line block ×3, first 2 shown]
	s_branch .LBB0_381
.LBB0_380:                              ;   in Loop: Header=BB0_381 Depth=2
	s_or_b64 exec, exec, s[22:23]
	v_add_co_u32_e32 v26, vcc, 1, v20
	v_addc_co_u32_e32 v27, vcc, 0, v21, vcc
	v_add_co_u32_e32 v22, vcc, 1, v22
	v_addc_co_u32_e32 v23, vcc, 0, v23, vcc
	v_cmp_eq_u64_e32 vcc, 0, v[22:23]
	v_add_u32_e32 v29, 8, v29
	s_or_b64 s[8:9], vcc, s[8:9]
	v_pk_mov_b32 v[24:25], v[20:21], v[20:21] op_sel:[0,1]
	v_pk_mov_b32 v[20:21], v[26:27], v[26:27] op_sel:[0,1]
	s_andn2_b64 exec, exec, s[8:9]
	s_cbranch_execz .LBB0_391
.LBB0_381:                              ;   Parent Loop BB0_292 Depth=1
                                        ; =>  This Inner Loop Header: Depth=2
	v_lshl_add_u32 v46, v24, 3, v58
	ds_read_b64 v[30:31], v46
	s_mov_b64 s[20:21], 0
                                        ; implicit-def: $vgpr44
                                        ; implicit-def: $vgpr26_vgpr27
                                        ; implicit-def: $vgpr25
	s_waitcnt lgkmcnt(0)
	v_cmp_le_f64_e32 vcc, 0, v[30:31]
	s_and_saveexec_b64 s[22:23], vcc
	s_xor_b64 s[22:23], exec, s[22:23]
	s_cbranch_execnz .LBB0_384
; %bb.382:                              ;   in Loop: Header=BB0_381 Depth=2
	s_andn2_saveexec_b64 s[22:23], s[22:23]
	s_cbranch_execnz .LBB0_387
.LBB0_383:                              ;   in Loop: Header=BB0_381 Depth=2
	s_or_b64 exec, exec, s[22:23]
	s_and_saveexec_b64 s[22:23], s[20:21]
	s_cbranch_execz .LBB0_380
	s_branch .LBB0_390
.LBB0_384:                              ;   in Loop: Header=BB0_381 Depth=2
	v_lshl_add_u32 v45, v28, 3, v58
	ds_write_b64 v45, v[30:31]
	ds_read_b64 v[24:25], v46 offset:80
	v_add_u32_e32 v44, 1, v28
                                        ; implicit-def: $vgpr26_vgpr27
	s_waitcnt lgkmcnt(0)
	ds_write_b64 v45, v[24:25] offset:80
	ds_read_b64 v[24:25], v46 offset:160
	s_waitcnt lgkmcnt(0)
	ds_write_b64 v45, v[24:25] offset:160
	ds_read_b64 v[30:31], v29 offset:80
                                        ; implicit-def: $vgpr25
                                        ; implicit-def: $vgpr24
	s_waitcnt lgkmcnt(0)
	v_cmp_gt_f64_e32 vcc, 0, v[30:31]
	s_and_saveexec_b64 s[24:25], vcc
	s_cbranch_execz .LBB0_386
; %bb.385:                              ;   in Loop: Header=BB0_381 Depth=2
	ds_read_b64 v[26:27], v46
	v_add_f64 v[48:49], -v[30:31], 0
	v_mov_b32_e32 v43, v42
	ds_write_b64 v45, v[42:43] offset:8
	v_add_u32_e32 v25, 0xa0, v46
	s_waitcnt lgkmcnt(1)
	v_add_f64 v[26:27], v[26:27], -v[30:31]
	v_div_scale_f64 v[30:31], s[26:27], v[26:27], v[26:27], v[48:49]
	v_rcp_f64_e32 v[50:51], v[30:31]
	ds_read_b64 v[56:57], v29 offset:160
	ds_read_b64 v[46:47], v46 offset:80
	v_div_scale_f64 v[52:53], vcc, v[48:49], v[26:27], v[48:49]
	v_fma_f64 v[54:55], -v[30:31], v[50:51], 1.0
	v_fmac_f64_e32 v[50:51], v[50:51], v[54:55]
	v_fma_f64 v[54:55], -v[30:31], v[50:51], 1.0
	v_fmac_f64_e32 v[50:51], v[50:51], v[54:55]
	v_mul_f64 v[54:55], v[52:53], v[50:51]
	v_fma_f64 v[30:31], -v[30:31], v[54:55], v[52:53]
	v_div_fmas_f64 v[30:31], v[30:31], v[50:51], v[54:55]
	v_div_fixup_f64 v[26:27], v[30:31], v[26:27], v[48:49]
	s_waitcnt lgkmcnt(0)
	v_add_f64 v[30:31], v[46:47], -v[56:57]
	v_fmac_f64_e32 v[56:57], v[26:27], v[30:31]
	v_lshl_add_u32 v24, v28, 3, v73
	s_mov_b64 s[20:21], exec
	ds_write_b64 v24, v[56:57]
	v_mov_b32_e32 v24, v20
.LBB0_386:                              ;   in Loop: Header=BB0_381 Depth=2
	s_or_b64 exec, exec, s[24:25]
	s_and_b64 s[20:21], s[20:21], exec
	v_mov_b32_e32 v28, v44
                                        ; implicit-def: $vgpr30_vgpr31
                                        ; implicit-def: $vgpr46
	s_andn2_saveexec_b64 s[22:23], s[22:23]
	s_cbranch_execz .LBB0_383
.LBB0_387:                              ;   in Loop: Header=BB0_381 Depth=2
	ds_read_b64 v[44:45], v29 offset:80
	s_mov_b64 s[26:27], s[20:21]
                                        ; implicit-def: $vgpr26_vgpr27
                                        ; implicit-def: $vgpr25
	s_waitcnt lgkmcnt(0)
	v_cmp_le_f64_e32 vcc, 0, v[44:45]
	s_and_saveexec_b64 s[24:25], vcc
	s_cbranch_execz .LBB0_389
; %bb.388:                              ;   in Loop: Header=BB0_381 Depth=2
	v_add_f64 v[26:27], v[44:45], -v[30:31]
	v_add_f64 v[30:31], -v[30:31], 0
	v_div_scale_f64 v[44:45], s[26:27], v[26:27], v[26:27], v[30:31]
	v_rcp_f64_e32 v[48:49], v[44:45]
	v_lshl_add_u32 v25, v28, 3, v58
	v_mov_b32_e32 v43, v42
	ds_write_b64 v25, v[42:43]
	v_fma_f64 v[50:51], -v[44:45], v[48:49], 1.0
	v_fmac_f64_e32 v[48:49], v[48:49], v[50:51]
	v_fma_f64 v[50:51], -v[44:45], v[48:49], 1.0
	ds_read_b64 v[46:47], v46 offset:80
	ds_read_b64 v[54:55], v29 offset:160
	v_fmac_f64_e32 v[48:49], v[48:49], v[50:51]
	v_div_scale_f64 v[50:51], vcc, v[30:31], v[26:27], v[30:31]
	v_mul_f64 v[52:53], v[50:51], v[48:49]
	v_fma_f64 v[44:45], -v[44:45], v[52:53], v[50:51]
	s_or_b64 s[26:27], s[20:21], exec
	s_nop 0
	v_div_fmas_f64 v[44:45], v[44:45], v[48:49], v[52:53]
	v_div_fixup_f64 v[26:27], v[44:45], v[26:27], v[30:31]
	s_waitcnt lgkmcnt(0)
	v_add_f64 v[30:31], v[54:55], -v[46:47]
	v_fmac_f64_e32 v[46:47], v[26:27], v[30:31]
	ds_write_b64 v25, v[46:47] offset:80
	v_add_u32_e32 v25, 0xf0, v29
.LBB0_389:                              ;   in Loop: Header=BB0_381 Depth=2
	s_or_b64 exec, exec, s[24:25]
	s_andn2_b64 s[20:21], s[20:21], exec
	s_and_b64 s[24:25], s[26:27], exec
	s_or_b64 s[20:21], s[20:21], s[24:25]
	v_mov_b32_e32 v44, v28
	s_or_b64 exec, exec, s[22:23]
	s_and_saveexec_b64 s[22:23], s[20:21]
	s_cbranch_execz .LBB0_380
.LBB0_390:                              ;   in Loop: Header=BB0_381 Depth=2
	v_lshl_add_u32 v28, v24, 3, v67
	ds_read_b64 v[24:25], v25
	ds_read_b64 v[30:31], v28
	v_lshl_add_u32 v28, v44, 3, v67
	s_waitcnt lgkmcnt(0)
	v_add_f64 v[24:25], v[24:25], -v[30:31]
	v_fmac_f64_e32 v[30:31], v[26:27], v[24:25]
	ds_write_b64 v28, v[30:31]
	v_add_u32_e32 v28, 1, v44
	s_branch .LBB0_380
.LBB0_391:                              ;   in Loop: Header=BB0_292 Depth=1
	s_or_b64 exec, exec, s[8:9]
.LBB0_392:                              ;   in Loop: Header=BB0_292 Depth=1
	s_or_b64 exec, exec, s[6:7]
	v_ashrrev_i32_e32 v29, 31, v28
	v_cmp_lt_i32_e64 s[6:7], 0, v28
	s_and_saveexec_b64 s[8:9], s[6:7]
	s_cbranch_execz .LBB0_395
; %bb.393:                              ;   in Loop: Header=BB0_292 Depth=1
	v_mov_b32_e32 v22, 48
	s_mov_b64 s[20:21], 0
	v_pk_mov_b32 v[20:21], v[28:29], v[28:29] op_sel:[0,1]
	v_mov_b32_e32 v23, v58
.LBB0_394:                              ;   Parent Loop BB0_292 Depth=1
                                        ; =>  This Inner Loop Header: Depth=2
	ds_read2_b64 v[24:27], v23 offset1:10
	ds_read_b64 v[30:31], v23 offset:160
	v_add_co_u32_e32 v20, vcc, -1, v20
	v_addc_co_u32_e32 v21, vcc, -1, v21, vcc
	v_cmp_eq_u64_e32 vcc, 0, v[20:21]
	v_add_u32_e32 v23, 8, v23
	s_or_b64 s[20:21], vcc, s[20:21]
	s_waitcnt lgkmcnt(1)
	buffer_store_dword v25, v22, s[0:3], 0 offen offset:4
	buffer_store_dword v24, v22, s[0:3], 0 offen
	buffer_store_dword v27, v22, s[0:3], 0 offen offset:68
	buffer_store_dword v26, v22, s[0:3], 0 offen offset:64
	s_waitcnt lgkmcnt(0)
	buffer_store_dword v31, v22, s[0:3], 0 offen offset:132
	buffer_store_dword v30, v22, s[0:3], 0 offen offset:128
	v_add_u32_e32 v22, 8, v22
	s_andn2_b64 exec, exec, s[20:21]
	s_cbranch_execnz .LBB0_394
.LBB0_395:                              ;   in Loop: Header=BB0_292 Depth=1
	s_or_b64 exec, exec, s[8:9]
	v_add_u32_e32 v30, -1, v28
	v_ashrrev_i32_e32 v31, 31, v30
	v_cmp_ne_u32_e64 s[8:9], 0, v28
	v_mov_b32_e32 v43, 9
	s_and_saveexec_b64 s[20:21], s[8:9]
	s_cbranch_execnz .LBB0_398
; %bb.396:                              ;   in Loop: Header=BB0_292 Depth=1
	s_or_b64 exec, exec, s[20:21]
	v_cmp_gt_i32_e32 vcc, 7, v43
	s_and_saveexec_b64 s[20:21], vcc
	s_cbranch_execnz .LBB0_411
.LBB0_397:                              ;   in Loop: Header=BB0_292 Depth=1
	s_or_b64 exec, exec, s[20:21]
	s_and_saveexec_b64 s[20:21], s[6:7]
	s_cbranch_execnz .LBB0_418
	s_branch .LBB0_420
.LBB0_398:                              ;   in Loop: Header=BB0_292 Depth=1
	v_add_co_u32_e32 v20, vcc, 1, v30
	v_lshl_add_u32 v48, v28, 3, v75
	v_addc_co_u32_e32 v21, vcc, 0, v31, vcc
	s_mov_b64 s[22:23], 0
	v_pk_mov_b32 v[24:25], 0, 0
	v_mov_b32_e32 v43, 9
	v_pk_mov_b32 v[22:23], v[30:31], v[30:31] op_sel:[0,1]
	s_branch .LBB0_400
.LBB0_399:                              ;   in Loop: Header=BB0_400 Depth=2
	s_or_b64 exec, exec, s[26:27]
	v_add_co_u32_e32 v26, vcc, -1, v22
	v_addc_co_u32_e32 v27, vcc, -1, v23, vcc
	v_add_co_u32_e32 v20, vcc, -1, v20
	v_addc_co_u32_e32 v21, vcc, -1, v21, vcc
	v_cmp_eq_u64_e32 vcc, 0, v[20:21]
	v_add_u32_e32 v48, -8, v48
	s_or_b64 s[22:23], vcc, s[22:23]
	v_pk_mov_b32 v[24:25], v[22:23], v[22:23] op_sel:[0,1]
	v_pk_mov_b32 v[22:23], v[26:27], v[26:27] op_sel:[0,1]
	s_andn2_b64 exec, exec, s[22:23]
	s_cbranch_execz .LBB0_410
.LBB0_400:                              ;   Parent Loop BB0_292 Depth=1
                                        ; =>  This Inner Loop Header: Depth=2
	v_lshl_add_u32 v25, v24, 3, v58
	ds_read_b64 v[44:45], v25 offset:160
	s_mov_b64 s[24:25], 0
                                        ; implicit-def: $vgpr26_vgpr27
                                        ; implicit-def: $vgpr46
	s_waitcnt lgkmcnt(0)
	v_cmp_ge_f64_e32 vcc, v[44:45], v[36:37]
	s_and_saveexec_b64 s[26:27], vcc
	s_xor_b64 s[26:27], exec, s[26:27]
	s_cbranch_execnz .LBB0_403
; %bb.401:                              ;   in Loop: Header=BB0_400 Depth=2
	s_andn2_saveexec_b64 s[26:27], s[26:27]
	s_cbranch_execnz .LBB0_406
.LBB0_402:                              ;   in Loop: Header=BB0_400 Depth=2
	s_or_b64 exec, exec, s[26:27]
	s_and_saveexec_b64 s[26:27], s[24:25]
	s_cbranch_execz .LBB0_399
	s_branch .LBB0_409
.LBB0_403:                              ;   in Loop: Header=BB0_400 Depth=2
	v_lshl_add_u32 v47, v43, 3, v58
	ds_write_b64 v47, v[44:45] offset:160
	ds_read_b64 v[26:27], v25
	v_add_u32_e32 v43, -1, v43
                                        ; implicit-def: $vgpr46
                                        ; implicit-def: $vgpr24
	s_waitcnt lgkmcnt(0)
	ds_write_b64 v47, v[26:27]
	ds_read_b64 v[26:27], v25 offset:80
	s_waitcnt lgkmcnt(0)
	ds_write_b64 v47, v[26:27] offset:80
	ds_read_b64 v[44:45], v48 offset:80
                                        ; implicit-def: $vgpr26_vgpr27
	s_waitcnt lgkmcnt(0)
	v_cmp_lt_f64_e32 vcc, v[44:45], v[36:37]
	s_and_saveexec_b64 s[28:29], vcc
	s_cbranch_execz .LBB0_405
; %bb.404:                              ;   in Loop: Header=BB0_400 Depth=2
	ds_read_b64 v[26:27], v25 offset:160
	v_add_f64 v[50:51], v[36:37], -v[44:45]
	v_add_u32_e32 v24, 0xffffffb0, v48
	ds_write_b64 v47, v[36:37] offset:152
	v_add_u32_e32 v46, 0x50, v25
	s_waitcnt lgkmcnt(1)
	v_add_f64 v[26:27], v[26:27], -v[44:45]
	v_div_scale_f64 v[44:45], s[30:31], v[26:27], v[26:27], v[50:51]
	v_rcp_f64_e32 v[52:53], v[44:45]
	ds_read_b64 v[80:81], v24
	ds_read_b64 v[24:25], v25
	v_div_scale_f64 v[54:55], vcc, v[50:51], v[26:27], v[50:51]
	v_fma_f64 v[56:57], -v[44:45], v[52:53], 1.0
	v_fmac_f64_e32 v[52:53], v[52:53], v[56:57]
	v_fma_f64 v[56:57], -v[44:45], v[52:53], 1.0
	v_fmac_f64_e32 v[52:53], v[52:53], v[56:57]
	v_mul_f64 v[56:57], v[54:55], v[52:53]
	v_fma_f64 v[44:45], -v[44:45], v[56:57], v[54:55]
	v_div_fmas_f64 v[44:45], v[44:45], v[52:53], v[56:57]
	v_div_fixup_f64 v[26:27], v[44:45], v[26:27], v[50:51]
	s_waitcnt lgkmcnt(0)
	v_add_f64 v[24:25], v[24:25], -v[80:81]
	v_fmac_f64_e32 v[80:81], v[26:27], v[24:25]
	v_add_u32_e32 v24, -8, v47
	s_mov_b64 s[24:25], exec
	ds_write_b64 v24, v[80:81]
	v_mov_b32_e32 v24, v22
.LBB0_405:                              ;   in Loop: Header=BB0_400 Depth=2
	s_or_b64 exec, exec, s[28:29]
	s_and_b64 s[24:25], s[24:25], exec
                                        ; implicit-def: $vgpr44_vgpr45
                                        ; implicit-def: $vgpr25
	s_andn2_saveexec_b64 s[26:27], s[26:27]
	s_cbranch_execz .LBB0_402
.LBB0_406:                              ;   in Loop: Header=BB0_400 Depth=2
	ds_read_b64 v[46:47], v48 offset:80
	s_mov_b64 s[30:31], s[24:25]
                                        ; implicit-def: $vgpr26_vgpr27
	s_waitcnt lgkmcnt(0)
	v_cmp_ge_f64_e32 vcc, v[46:47], v[36:37]
	s_and_saveexec_b64 s[28:29], vcc
	s_cbranch_execz .LBB0_408
; %bb.407:                              ;   in Loop: Header=BB0_400 Depth=2
	v_add_f64 v[26:27], v[46:47], -v[44:45]
	v_add_f64 v[44:45], v[36:37], -v[44:45]
	v_div_scale_f64 v[46:47], s[30:31], v[26:27], v[26:27], v[44:45]
	v_rcp_f64_e32 v[50:51], v[46:47]
	v_lshl_add_u32 v82, v43, 3, v58
	ds_write_b64 v82, v[36:37] offset:160
	v_add_u32_e32 v49, 0xffffffb0, v48
	v_fma_f64 v[52:53], -v[46:47], v[50:51], 1.0
	v_fmac_f64_e32 v[50:51], v[50:51], v[52:53]
	v_fma_f64 v[52:53], -v[46:47], v[50:51], 1.0
	ds_read_b64 v[56:57], v25
	ds_read_b64 v[80:81], v49
	v_fmac_f64_e32 v[50:51], v[50:51], v[52:53]
	v_div_scale_f64 v[52:53], vcc, v[44:45], v[26:27], v[44:45]
	v_mul_f64 v[54:55], v[52:53], v[50:51]
	v_fma_f64 v[46:47], -v[46:47], v[54:55], v[52:53]
	s_or_b64 s[30:31], s[24:25], exec
	s_nop 0
	v_div_fmas_f64 v[46:47], v[46:47], v[50:51], v[54:55]
	v_div_fixup_f64 v[26:27], v[46:47], v[26:27], v[44:45]
	s_waitcnt lgkmcnt(0)
	v_add_f64 v[44:45], v[80:81], -v[56:57]
	v_fmac_f64_e32 v[56:57], v[26:27], v[44:45]
	ds_write_b64 v82, v[56:57]
.LBB0_408:                              ;   in Loop: Header=BB0_400 Depth=2
	s_or_b64 exec, exec, s[28:29]
	s_andn2_b64 s[24:25], s[24:25], exec
	s_and_b64 s[28:29], s[30:31], exec
	s_or_b64 s[24:25], s[24:25], s[28:29]
	v_mov_b32_e32 v46, v48
	s_or_b64 exec, exec, s[26:27]
	s_and_saveexec_b64 s[26:27], s[24:25]
	s_cbranch_execz .LBB0_399
.LBB0_409:                              ;   in Loop: Header=BB0_400 Depth=2
	v_lshl_add_u32 v44, v24, 3, v68
	ds_read_b64 v[24:25], v46
	ds_read_b64 v[44:45], v44
	v_lshl_add_u32 v46, v43, 3, v68
	v_add_u32_e32 v43, -1, v43
	s_waitcnt lgkmcnt(0)
	v_add_f64 v[24:25], v[24:25], -v[44:45]
	v_fmac_f64_e32 v[44:45], v[26:27], v[24:25]
	ds_write_b64 v46, v[44:45]
	s_branch .LBB0_399
.LBB0_410:                              ;   in Loop: Header=BB0_292 Depth=1
	s_or_b64 exec, exec, s[22:23]
	s_or_b64 exec, exec, s[20:21]
	v_cmp_gt_i32_e32 vcc, 7, v43
	s_and_saveexec_b64 s[20:21], vcc
	s_cbranch_execz .LBB0_397
.LBB0_411:                              ;   in Loop: Header=BB0_292 Depth=1
	v_sub_u32_e32 v54, 9, v43
	v_mov_b32_e32 v55, v42
	v_lshlrev_b32_e32 v80, 3, v43
	v_add_u32_e32 v22, v70, v80
	s_mov_b64 s[22:23], 0
	v_pk_mov_b32 v[20:21], v[54:55], v[54:55] op_sel:[0,1]
.LBB0_412:                              ;   Parent Loop BB0_292 Depth=1
                                        ; =>  This Inner Loop Header: Depth=2
	v_add_co_u32_e32 v20, vcc, -1, v20
	v_addc_co_u32_e32 v21, vcc, -1, v21, vcc
	v_cmp_eq_u64_e32 vcc, 0, v[20:21]
	ds_write_b64 v22, v[36:37]
	s_or_b64 s[22:23], vcc, s[22:23]
	v_add_u32_e32 v22, 8, v22
	s_andn2_b64 exec, exec, s[22:23]
	s_cbranch_execnz .LBB0_412
; %bb.413:                              ;   in Loop: Header=BB0_292 Depth=1
	s_or_b64 exec, exec, s[22:23]
	v_pk_mov_b32 v[44:45], 0, 0
	v_cmp_lt_u32_e32 vcc, 2, v54
	v_pk_mov_b32 v[46:47], v[44:45], v[44:45] op_sel:[0,1]
	v_pk_mov_b32 v[50:51], v[44:45], v[44:45] op_sel:[0,1]
	;; [unrolled: 1-line block ×3, first 2 shown]
	s_and_saveexec_b64 s[22:23], vcc
	s_cbranch_execz .LBB0_417
; %bb.414:                              ;   in Loop: Header=BB0_292 Depth=1
	v_lshl_add_u32 v43, v43, 3, v68
	v_add_u32_e32 v44, 0xffffffb8, v43
	ds_read2_b64 v[20:23], v43 offset0:1 offset1:2
	ds_read2_b64 v[24:27], v43 offset0:11 offset1:12
	v_subrev_u32_e32 v43, 64, v43
	ds_read_b64 v[52:53], v44
	ds_read_b64 v[56:57], v43
	v_add_co_u32_e32 v54, vcc, -2, v54
	v_addc_co_u32_e64 v55, s[24:25], 0, -1, vcc
	v_pk_mov_b32 v[48:49], 0, 0
	v_add_u32_e32 v43, v76, v80
	s_mov_b64 s[24:25], 0
	v_pk_mov_b32 v[50:51], v[48:49], v[48:49] op_sel:[0,1]
	v_pk_mov_b32 v[46:47], v[48:49], v[48:49] op_sel:[0,1]
	;; [unrolled: 1-line block ×3, first 2 shown]
.LBB0_415:                              ;   Parent Loop BB0_292 Depth=1
                                        ; =>  This Inner Loop Header: Depth=2
	ds_read2_b64 v[80:83], v43 offset1:10
	ds_read_b64 v[84:85], v43 offset:160
	s_waitcnt lgkmcnt(4)
	v_add_f64 v[86:87], v[24:25], v[26:27]
	s_waitcnt lgkmcnt(2)
	v_add_f64 v[88:89], v[52:53], v[56:57]
	v_add_f64 v[90:91], v[20:21], v[22:23]
	v_mul_f64 v[94:95], v[86:87], 0.5
	v_fma_f64 v[88:89], v[0:1], v[88:89], v[2:3]
	v_fma_f64 v[96:97], v[38:39], v[90:91], v[10:11]
	v_fma_f64 v[98:99], 0.5, v[94:95], v[6:7]
	s_waitcnt lgkmcnt(1)
	v_add_f64 v[102:103], v[22:23], v[82:83]
	v_add_f64 v[110:111], v[56:57], -v[80:81]
	v_add_f64 v[92:93], v[52:53], -v[56:57]
	v_fma_f64 v[88:89], v[88:89], v[94:95], 0
	v_fma_f64 v[96:97], v[94:95], v[96:97], 0
	;; [unrolled: 1-line block ×3, first 2 shown]
	s_waitcnt lgkmcnt(0)
	v_add_f64 v[98:99], v[26:27], v[84:85]
	v_add_f64 v[100:101], v[56:57], v[80:81]
	;; [unrolled: 1-line block ×3, first 2 shown]
	v_pk_mov_b32 v[26:27], v[84:85], v[84:85] op_sel:[0,1]
	v_fma_f64 v[84:85], v[38:39], v[102:103], v[10:11]
	v_mul_f64 v[102:103], v[110:111], v[102:103]
	v_fma_f64 v[86:87], v[86:87], 0.5, 0
	v_add_f64 v[106:107], v[52:53], v[80:81]
	v_add_f64 v[108:109], v[20:21], v[82:83]
	v_add_f64 v[112:113], v[80:81], -v[52:53]
	v_pk_mov_b32 v[56:57], v[80:81], v[80:81] op_sel:[0,1]
	v_pk_mov_b32 v[22:23], v[82:83], v[82:83] op_sel:[0,1]
	v_mul_f64 v[80:81], v[98:99], 0.5
	v_fma_f64 v[82:83], v[0:1], v[100:101], v[2:3]
	v_fmac_f64_e32 v[102:103], v[92:93], v[90:91]
	v_add_co_u32_e32 v54, vcc, -1, v54
	v_fmac_f64_e32 v[86:87], 0.5, v[98:99]
	v_mul_f64 v[98:99], v[104:105], 0.5
	v_fmac_f64_e32 v[88:89], v[82:83], v[80:81]
	v_fma_f64 v[82:83], 0.5, v[80:81], v[6:7]
	v_fmac_f64_e32 v[102:103], v[112:113], v[108:109]
	v_addc_co_u32_e32 v55, vcc, -1, v55, vcc
	v_fma_f64 v[100:101], v[0:1], v[106:107], v[2:3]
	v_fma_f64 v[106:107], v[38:39], v[108:109], v[10:11]
	v_fmac_f64_e32 v[96:97], v[80:81], v[84:85]
	v_fma_f64 v[84:85], 0.5, v[98:99], v[6:7]
	v_fmac_f64_e32 v[94:95], v[80:81], v[82:83]
	v_mul_f64 v[80:81], v[102:103], 0.5
	v_cmp_eq_u64_e32 vcc, 0, v[54:55]
	v_fmac_f64_e32 v[86:87], 0.5, v[104:105]
	v_fmac_f64_e32 v[88:89], v[100:101], v[98:99]
	v_fmac_f64_e32 v[96:97], v[98:99], v[106:107]
	;; [unrolled: 1-line block ×3, first 2 shown]
	v_mul_f64 v[80:81], v[80:81], s[16:17]
	v_add_u32_e32 v43, 8, v43
	s_or_b64 s[24:25], vcc, s[24:25]
	v_fmac_f64_e32 v[48:49], v[86:87], v[80:81]
	v_fmac_f64_e32 v[50:51], v[80:81], v[88:89]
	;; [unrolled: 1-line block ×4, first 2 shown]
	s_andn2_b64 exec, exec, s[24:25]
	s_cbranch_execnz .LBB0_415
; %bb.416:                              ;   in Loop: Header=BB0_292 Depth=1
	s_or_b64 exec, exec, s[24:25]
.LBB0_417:                              ;   in Loop: Header=BB0_292 Depth=1
	s_or_b64 exec, exec, s[22:23]
	v_fmac_f64_e32 v[16:17], v[4:5], v[48:49]
	v_fmac_f64_e32 v[18:19], v[4:5], v[50:51]
	;; [unrolled: 1-line block ×4, first 2 shown]
	s_or_b64 exec, exec, s[20:21]
	s_and_saveexec_b64 s[20:21], s[6:7]
	s_cbranch_execz .LBB0_420
.LBB0_418:                              ;   in Loop: Header=BB0_292 Depth=1
	v_mov_b32_e32 v22, 48
	s_mov_b64 s[6:7], 0
	v_mov_b32_e32 v23, v58
	v_pk_mov_b32 v[20:21], v[28:29], v[28:29] op_sel:[0,1]
.LBB0_419:                              ;   Parent Loop BB0_292 Depth=1
                                        ; =>  This Inner Loop Header: Depth=2
	buffer_load_dword v24, v22, s[0:3], 0 offen
	buffer_load_dword v25, v22, s[0:3], 0 offen offset:4
	buffer_load_dword v26, v22, s[0:3], 0 offen offset:128
	;; [unrolled: 1-line block ×5, first 2 shown]
	v_add_co_u32_e32 v20, vcc, -1, v20
	v_addc_co_u32_e32 v21, vcc, -1, v21, vcc
	v_cmp_eq_u64_e32 vcc, 0, v[20:21]
	v_add_u32_e32 v22, 8, v22
	s_or_b64 s[6:7], vcc, s[6:7]
	s_waitcnt vmcnt(1)
	ds_write2_b64 v23, v[24:25], v[44:45] offset1:10
	s_waitcnt vmcnt(0)
	ds_write_b64 v23, v[26:27] offset:160
	v_add_u32_e32 v23, 8, v23
	s_andn2_b64 exec, exec, s[6:7]
	s_cbranch_execnz .LBB0_419
.LBB0_420:                              ;   in Loop: Header=BB0_292 Depth=1
	s_or_b64 exec, exec, s[20:21]
	v_mov_b32_e32 v22, 0
	s_and_saveexec_b64 s[6:7], s[8:9]
	s_cbranch_execz .LBB0_434
; %bb.421:                              ;   in Loop: Header=BB0_292 Depth=1
	v_add_co_u32_e32 v20, vcc, 1, v30
	v_pk_mov_b32 v[22:23], 0, 0
	v_lshl_add_u32 v43, v28, 3, v74
	v_addc_co_u32_e32 v21, vcc, 0, v31, vcc
	s_mov_b64 s[8:9], 0
	v_mov_b32_e32 v23, 9
	s_branch .LBB0_423
.LBB0_422:                              ;   in Loop: Header=BB0_423 Depth=2
	s_or_b64 exec, exec, s[22:23]
	v_add_co_u32_e32 v24, vcc, -1, v30
	v_addc_co_u32_e32 v25, vcc, -1, v31, vcc
	v_add_co_u32_e32 v20, vcc, -1, v20
	v_addc_co_u32_e32 v21, vcc, -1, v21, vcc
	v_cmp_eq_u64_e32 vcc, 0, v[20:21]
	v_pk_mov_b32 v[22:23], v[30:31], v[30:31] op_sel:[0,1]
	v_add_u32_e32 v43, -8, v43
	s_or_b64 s[8:9], vcc, s[8:9]
	v_mov_b32_e32 v23, v28
	v_pk_mov_b32 v[30:31], v[24:25], v[24:25] op_sel:[0,1]
	s_andn2_b64 exec, exec, s[8:9]
	s_cbranch_execz .LBB0_433
.LBB0_423:                              ;   Parent Loop BB0_292 Depth=1
                                        ; =>  This Inner Loop Header: Depth=2
	v_lshl_add_u32 v45, v22, 3, v58
	ds_read_b64 v[26:27], v45 offset:160
	s_mov_b64 s[20:21], 0
                                        ; implicit-def: $sgpr26
                                        ; implicit-def: $vgpr28
                                        ; implicit-def: $vgpr24_vgpr25
                                        ; implicit-def: $vgpr44
	s_waitcnt lgkmcnt(0)
	v_cmp_nlt_f64_e32 vcc, v[26:27], v[36:37]
	s_and_saveexec_b64 s[22:23], vcc
	s_xor_b64 s[22:23], exec, s[22:23]
	s_cbranch_execnz .LBB0_426
; %bb.424:                              ;   in Loop: Header=BB0_423 Depth=2
	s_or_saveexec_b64 s[22:23], s[22:23]
	v_mov_b32_e32 v29, s26
	s_xor_b64 exec, exec, s[22:23]
	s_cbranch_execnz .LBB0_429
.LBB0_425:                              ;   in Loop: Header=BB0_423 Depth=2
	s_or_b64 exec, exec, s[22:23]
	s_and_saveexec_b64 s[22:23], s[20:21]
	s_cbranch_execz .LBB0_422
	s_branch .LBB0_432
.LBB0_426:                              ;   in Loop: Header=BB0_423 Depth=2
	ds_read_b64 v[28:29], v43 offset:160
                                        ; implicit-def: $sgpr26
                                        ; implicit-def: $vgpr24_vgpr25
                                        ; implicit-def: $vgpr44
	s_waitcnt lgkmcnt(0)
	v_cmp_lt_f64_e32 vcc, v[28:29], v[36:37]
	s_and_saveexec_b64 s[24:25], vcc
	s_xor_b64 s[24:25], exec, s[24:25]
	s_cbranch_execz .LBB0_428
; %bb.427:                              ;   in Loop: Header=BB0_423 Depth=2
	v_add_f64 v[24:25], v[26:27], -v[28:29]
	v_add_f64 v[26:27], v[36:37], -v[28:29]
	v_div_scale_f64 v[28:29], s[26:27], v[24:25], v[24:25], v[26:27]
	v_rcp_f64_e32 v[46:47], v[28:29]
	v_lshl_add_u32 v54, v23, 3, v58
	ds_write_b64 v54, v[36:37] offset:160
	ds_read_b64 v[52:53], v43
	ds_read_b64 v[44:45], v45
	v_fma_f64 v[48:49], -v[28:29], v[46:47], 1.0
	v_fmac_f64_e32 v[46:47], v[46:47], v[48:49]
	v_fma_f64 v[48:49], -v[28:29], v[46:47], 1.0
	v_fmac_f64_e32 v[46:47], v[46:47], v[48:49]
	v_div_scale_f64 v[48:49], vcc, v[26:27], v[24:25], v[26:27]
	v_mul_f64 v[50:51], v[48:49], v[46:47]
	v_fma_f64 v[28:29], -v[28:29], v[50:51], v[48:49]
	s_mov_b64 s[20:21], exec
	s_nop 0
	v_div_fmas_f64 v[28:29], v[28:29], v[46:47], v[50:51]
	v_div_fixup_f64 v[24:25], v[28:29], v[24:25], v[26:27]
	s_waitcnt lgkmcnt(0)
	v_add_f64 v[26:27], v[44:45], -v[52:53]
	v_fmac_f64_e32 v[52:53], v[24:25], v[26:27]
	v_add_u32_e32 v44, 0x50, v43
	s_mov_b32 s26, -1
	ds_write_b64 v54, v[52:53]
.LBB0_428:                              ;   in Loop: Header=BB0_423 Depth=2
	s_or_b64 exec, exec, s[24:25]
	s_and_b64 s[20:21], s[20:21], exec
	v_mov_b32_e32 v28, v23
                                        ; implicit-def: $vgpr26_vgpr27
                                        ; implicit-def: $vgpr45
	s_or_saveexec_b64 s[22:23], s[22:23]
	v_mov_b32_e32 v29, s26
	s_xor_b64 exec, exec, s[22:23]
	s_cbranch_execz .LBB0_425
.LBB0_429:                              ;   in Loop: Header=BB0_423 Depth=2
	v_lshl_add_u32 v29, v23, 3, v58
	ds_write_b64 v29, v[26:27] offset:160
	ds_read_b64 v[24:25], v45
	v_add_u32_e32 v28, -1, v23
	s_mov_b64 s[26:27], s[20:21]
                                        ; implicit-def: $sgpr28
                                        ; implicit-def: $vgpr44
                                        ; implicit-def: $vgpr22
	s_waitcnt lgkmcnt(0)
	ds_write_b64 v29, v[24:25]
	ds_read_b64 v[24:25], v45 offset:80
	s_waitcnt lgkmcnt(0)
	ds_write_b64 v29, v[24:25] offset:80
	ds_read_b64 v[26:27], v43 offset:160
                                        ; implicit-def: $vgpr24_vgpr25
	s_waitcnt lgkmcnt(0)
	v_cmp_ge_f64_e32 vcc, v[26:27], v[36:37]
	s_and_saveexec_b64 s[24:25], vcc
	s_cbranch_execz .LBB0_431
; %bb.430:                              ;   in Loop: Header=BB0_423 Depth=2
	ds_read_b64 v[24:25], v45 offset:160
	ds_write_b64 v29, v[36:37] offset:152
	ds_read_b64 v[50:51], v45
	ds_read_b64 v[56:57], v43
	v_add_u32_e32 v22, -8, v29
	s_waitcnt lgkmcnt(3)
	v_add_f64 v[26:27], v[26:27], -v[24:25]
	v_add_f64 v[24:25], v[36:37], -v[24:25]
	v_div_scale_f64 v[46:47], s[26:27], v[26:27], v[26:27], v[24:25]
	v_rcp_f64_e32 v[48:49], v[46:47]
	v_div_scale_f64 v[52:53], vcc, v[24:25], v[26:27], v[24:25]
	v_add_u32_e32 v44, 0x50, v45
	v_fma_f64 v[54:55], -v[46:47], v[48:49], 1.0
	v_fmac_f64_e32 v[48:49], v[48:49], v[54:55]
	v_fma_f64 v[54:55], -v[46:47], v[48:49], 1.0
	v_fmac_f64_e32 v[48:49], v[48:49], v[54:55]
	v_mul_f64 v[54:55], v[52:53], v[48:49]
	v_fma_f64 v[46:47], -v[46:47], v[54:55], v[52:53]
	v_div_fmas_f64 v[46:47], v[46:47], v[48:49], v[54:55]
	v_div_fixup_f64 v[24:25], v[46:47], v[26:27], v[24:25]
	s_waitcnt lgkmcnt(0)
	v_add_f64 v[26:27], v[56:57], -v[50:51]
	v_fmac_f64_e32 v[50:51], v[24:25], v[26:27]
	ds_write_b64 v22, v[50:51]
	s_mov_b32 s28, -2
	s_or_b64 s[26:27], s[20:21], exec
	v_mov_b32_e32 v22, v30
.LBB0_431:                              ;   in Loop: Header=BB0_423 Depth=2
	s_or_b64 exec, exec, s[24:25]
	s_andn2_b64 s[20:21], s[20:21], exec
	s_and_b64 s[24:25], s[26:27], exec
	v_mov_b32_e32 v29, s28
	s_or_b64 s[20:21], s[20:21], s[24:25]
	s_or_b64 exec, exec, s[22:23]
	s_and_saveexec_b64 s[22:23], s[20:21]
	s_cbranch_execz .LBB0_422
.LBB0_432:                              ;   in Loop: Header=BB0_423 Depth=2
	v_lshl_add_u32 v22, v22, 3, v68
	ds_read_b64 v[26:27], v44
	ds_read_b64 v[44:45], v22
	v_lshl_add_u32 v22, v28, 3, v68
	v_add_u32_e32 v28, v29, v23
	s_waitcnt lgkmcnt(0)
	v_add_f64 v[44:45], v[44:45], -v[26:27]
	v_fmac_f64_e32 v[26:27], v[24:25], v[44:45]
	ds_write_b64 v22, v[26:27]
	s_branch .LBB0_422
.LBB0_433:                              ;   in Loop: Header=BB0_292 Depth=1
	s_or_b64 exec, exec, s[8:9]
	v_add_u32_e32 v22, -9, v28
.LBB0_434:                              ;   in Loop: Header=BB0_292 Depth=1
	s_or_b64 exec, exec, s[6:7]
	v_cmp_ne_u32_e32 vcc, 0, v22
	v_mov_b32_e32 v45, 0
	s_and_saveexec_b64 s[6:7], vcc
	s_cbranch_execz .LBB0_448
; %bb.435:                              ;   in Loop: Header=BB0_292 Depth=1
	v_add_u32_e32 v20, 10, v22
	v_ashrrev_i32_e32 v21, 31, v20
	v_lshl_add_u32 v44, v22, 3, v68
	v_add_co_u32_e32 v22, vcc, -10, v20
	v_addc_co_u32_e32 v23, vcc, -1, v21, vcc
	s_mov_b64 s[8:9], 0
	v_mov_b32_e32 v24, 9
	v_mov_b32_e32 v45, 0
	;; [unrolled: 1-line block ×3, first 2 shown]
	s_branch .LBB0_437
.LBB0_436:                              ;   in Loop: Header=BB0_437 Depth=2
	s_or_b64 exec, exec, s[22:23]
	v_add_co_u32_e32 v26, vcc, 1, v20
	v_addc_co_u32_e32 v27, vcc, 0, v21, vcc
	v_add_co_u32_e32 v22, vcc, 1, v22
	v_addc_co_u32_e32 v23, vcc, 0, v23, vcc
	v_cmp_eq_u64_e32 vcc, 0, v[22:23]
	v_add_u32_e32 v44, 8, v44
	s_or_b64 s[8:9], vcc, s[8:9]
	v_pk_mov_b32 v[24:25], v[20:21], v[20:21] op_sel:[0,1]
	v_pk_mov_b32 v[20:21], v[26:27], v[26:27] op_sel:[0,1]
	s_andn2_b64 exec, exec, s[8:9]
	s_cbranch_execz .LBB0_447
.LBB0_437:                              ;   Parent Loop BB0_292 Depth=1
                                        ; =>  This Inner Loop Header: Depth=2
	v_lshl_add_u32 v46, v24, 3, v58
	ds_read_b64 v[28:29], v46 offset:160
	s_mov_b64 s[20:21], 0
                                        ; implicit-def: $vgpr30
                                        ; implicit-def: $vgpr26_vgpr27
                                        ; implicit-def: $vgpr25
	s_waitcnt lgkmcnt(0)
	v_cmp_le_f64_e32 vcc, 0, v[28:29]
	s_and_saveexec_b64 s[22:23], vcc
	s_xor_b64 s[22:23], exec, s[22:23]
	s_cbranch_execnz .LBB0_440
; %bb.438:                              ;   in Loop: Header=BB0_437 Depth=2
	s_andn2_saveexec_b64 s[22:23], s[22:23]
	s_cbranch_execnz .LBB0_443
.LBB0_439:                              ;   in Loop: Header=BB0_437 Depth=2
	s_or_b64 exec, exec, s[22:23]
	s_and_saveexec_b64 s[22:23], s[20:21]
	s_cbranch_execz .LBB0_436
	s_branch .LBB0_446
.LBB0_440:                              ;   in Loop: Header=BB0_437 Depth=2
	v_lshl_add_u32 v31, v45, 3, v58
	ds_write_b64 v31, v[28:29] offset:160
	ds_read_b64 v[24:25], v46
	v_add_u32_e32 v30, 1, v45
                                        ; implicit-def: $vgpr26_vgpr27
	s_waitcnt lgkmcnt(0)
	ds_write_b64 v31, v[24:25]
	ds_read_b64 v[24:25], v46 offset:80
	s_waitcnt lgkmcnt(0)
	ds_write_b64 v31, v[24:25] offset:80
	ds_read_b64 v[28:29], v44 offset:160
                                        ; implicit-def: $vgpr25
                                        ; implicit-def: $vgpr24
	s_waitcnt lgkmcnt(0)
	v_cmp_gt_f64_e32 vcc, 0, v[28:29]
	s_and_saveexec_b64 s[24:25], vcc
	s_cbranch_execz .LBB0_442
; %bb.441:                              ;   in Loop: Header=BB0_437 Depth=2
	ds_read_b64 v[26:27], v46 offset:160
	v_add_f64 v[48:49], -v[28:29], 0
	v_lshl_add_u32 v24, v45, 3, v70
	v_mov_b32_e32 v43, v42
	ds_write_b64 v24, v[42:43]
	s_waitcnt lgkmcnt(1)
	v_add_f64 v[26:27], v[26:27], -v[28:29]
	v_div_scale_f64 v[28:29], s[26:27], v[26:27], v[26:27], v[48:49]
	v_rcp_f64_e32 v[50:51], v[28:29]
	v_add_u32_e32 v25, 0x50, v46
	ds_read_b64 v[56:57], v44
	ds_read_b64 v[46:47], v46
	v_div_scale_f64 v[52:53], vcc, v[48:49], v[26:27], v[48:49]
	v_fma_f64 v[54:55], -v[28:29], v[50:51], 1.0
	v_fmac_f64_e32 v[50:51], v[50:51], v[54:55]
	v_fma_f64 v[54:55], -v[28:29], v[50:51], 1.0
	v_fmac_f64_e32 v[50:51], v[50:51], v[54:55]
	v_mul_f64 v[54:55], v[52:53], v[50:51]
	v_fma_f64 v[28:29], -v[28:29], v[54:55], v[52:53]
	v_div_fmas_f64 v[28:29], v[28:29], v[50:51], v[54:55]
	v_div_fixup_f64 v[26:27], v[28:29], v[26:27], v[48:49]
	s_waitcnt lgkmcnt(0)
	v_add_f64 v[28:29], v[46:47], -v[56:57]
	s_mov_b64 s[20:21], exec
	v_fmac_f64_e32 v[56:57], v[26:27], v[28:29]
	v_mov_b32_e32 v24, v20
	ds_write_b64 v31, v[56:57] offset:8
.LBB0_442:                              ;   in Loop: Header=BB0_437 Depth=2
	s_or_b64 exec, exec, s[24:25]
	s_and_b64 s[20:21], s[20:21], exec
	v_mov_b32_e32 v45, v30
                                        ; implicit-def: $vgpr28_vgpr29
                                        ; implicit-def: $vgpr46
	s_andn2_saveexec_b64 s[22:23], s[22:23]
	s_cbranch_execz .LBB0_439
.LBB0_443:                              ;   in Loop: Header=BB0_437 Depth=2
	ds_read_b64 v[30:31], v44 offset:160
	s_mov_b64 s[26:27], s[20:21]
                                        ; implicit-def: $vgpr26_vgpr27
                                        ; implicit-def: $vgpr25
	s_waitcnt lgkmcnt(0)
	v_cmp_le_f64_e32 vcc, 0, v[30:31]
	s_and_saveexec_b64 s[24:25], vcc
	s_cbranch_execz .LBB0_445
; %bb.444:                              ;   in Loop: Header=BB0_437 Depth=2
	v_add_f64 v[26:27], v[30:31], -v[28:29]
	v_add_f64 v[28:29], -v[28:29], 0
	v_div_scale_f64 v[30:31], s[26:27], v[26:27], v[26:27], v[28:29]
	v_rcp_f64_e32 v[48:49], v[30:31]
	v_lshl_add_u32 v25, v45, 3, v58
	v_mov_b32_e32 v43, v42
	ds_write_b64 v25, v[42:43] offset:160
	v_fma_f64 v[50:51], -v[30:31], v[48:49], 1.0
	v_fmac_f64_e32 v[48:49], v[48:49], v[50:51]
	v_fma_f64 v[50:51], -v[30:31], v[48:49], 1.0
	ds_read_b64 v[46:47], v46
	ds_read_b64 v[54:55], v44
	v_fmac_f64_e32 v[48:49], v[48:49], v[50:51]
	v_div_scale_f64 v[50:51], vcc, v[28:29], v[26:27], v[28:29]
	v_mul_f64 v[52:53], v[50:51], v[48:49]
	v_fma_f64 v[30:31], -v[30:31], v[52:53], v[50:51]
	s_or_b64 s[26:27], s[20:21], exec
	s_nop 0
	v_div_fmas_f64 v[30:31], v[30:31], v[48:49], v[52:53]
	v_div_fixup_f64 v[26:27], v[30:31], v[26:27], v[28:29]
	s_waitcnt lgkmcnt(0)
	v_add_f64 v[28:29], v[54:55], -v[46:47]
	v_fmac_f64_e32 v[46:47], v[26:27], v[28:29]
	ds_write_b64 v25, v[46:47]
	v_add_u32_e32 v25, 0x50, v44
.LBB0_445:                              ;   in Loop: Header=BB0_437 Depth=2
	s_or_b64 exec, exec, s[24:25]
	s_andn2_b64 s[20:21], s[20:21], exec
	s_and_b64 s[24:25], s[26:27], exec
	s_or_b64 s[20:21], s[20:21], s[24:25]
	v_mov_b32_e32 v30, v45
	s_or_b64 exec, exec, s[22:23]
	s_and_saveexec_b64 s[22:23], s[20:21]
	s_cbranch_execz .LBB0_436
.LBB0_446:                              ;   in Loop: Header=BB0_437 Depth=2
	v_lshl_add_u32 v28, v24, 3, v68
	ds_read_b64 v[24:25], v25
	ds_read_b64 v[28:29], v28
	v_lshl_add_u32 v31, v30, 3, v68
	v_add_u32_e32 v45, 1, v30
	s_waitcnt lgkmcnt(0)
	v_add_f64 v[24:25], v[24:25], -v[28:29]
	v_fmac_f64_e32 v[28:29], v[26:27], v[24:25]
	ds_write_b64 v31, v[28:29]
	s_branch .LBB0_436
.LBB0_447:                              ;   in Loop: Header=BB0_292 Depth=1
	s_or_b64 exec, exec, s[8:9]
.LBB0_448:                              ;   in Loop: Header=BB0_292 Depth=1
	s_or_b64 exec, exec, s[6:7]
	v_cmp_lt_i32_e32 vcc, 2, v45
	s_and_saveexec_b64 s[6:7], vcc
	s_cbranch_execz .LBB0_291
; %bb.449:                              ;   in Loop: Header=BB0_292 Depth=1
	ds_read2_b64 v[20:23], v58 offset1:1
	ds_read2_b64 v[24:27], v58 offset0:10 offset1:11
	ds_read2_b64 v[28:31], v58 offset0:20 offset1:21
	v_add_co_u32_e32 v44, vcc, -2, v45
	v_addc_co_u32_e64 v45, s[8:9], 0, -1, vcc
	v_pk_mov_b32 v[46:47], 0, 0
	s_mov_b64 s[8:9], 0
	v_mov_b32_e32 v43, v77
	v_pk_mov_b32 v[52:53], v[46:47], v[46:47] op_sel:[0,1]
	v_pk_mov_b32 v[50:51], v[46:47], v[46:47] op_sel:[0,1]
	v_pk_mov_b32 v[48:49], v[46:47], v[46:47] op_sel:[0,1]
.LBB0_450:                              ;   Parent Loop BB0_292 Depth=1
                                        ; =>  This Inner Loop Header: Depth=2
	ds_read2_b64 v[54:57], v43 offset1:10
	ds_read_b64 v[80:81], v43 offset:160
	s_waitcnt lgkmcnt(2)
	v_add_f64 v[82:83], v[28:29], v[30:31]
	v_add_f64 v[84:85], v[20:21], v[22:23]
	;; [unrolled: 1-line block ×3, first 2 shown]
	v_mul_f64 v[90:91], v[82:83], 0.5
	v_fma_f64 v[84:85], v[0:1], v[84:85], v[2:3]
	v_fma_f64 v[92:93], v[38:39], v[86:87], v[10:11]
	v_fma_f64 v[94:95], 0.5, v[90:91], v[6:7]
	s_waitcnt lgkmcnt(1)
	v_add_f64 v[98:99], v[26:27], v[56:57]
	v_add_f64 v[106:107], v[22:23], -v[54:55]
	v_add_f64 v[88:89], v[20:21], -v[22:23]
	v_fma_f64 v[84:85], v[84:85], v[90:91], 0
	v_fma_f64 v[92:93], v[90:91], v[92:93], 0
	;; [unrolled: 1-line block ×3, first 2 shown]
	s_waitcnt lgkmcnt(0)
	v_add_f64 v[94:95], v[30:31], v[80:81]
	v_add_f64 v[96:97], v[22:23], v[54:55]
	;; [unrolled: 1-line block ×3, first 2 shown]
	v_pk_mov_b32 v[30:31], v[80:81], v[80:81] op_sel:[0,1]
	v_fma_f64 v[80:81], v[38:39], v[98:99], v[10:11]
	v_mul_f64 v[98:99], v[106:107], v[98:99]
	v_fma_f64 v[82:83], v[82:83], 0.5, 0
	v_add_f64 v[102:103], v[20:21], v[54:55]
	v_add_f64 v[104:105], v[24:25], v[56:57]
	v_add_f64 v[108:109], v[54:55], -v[20:21]
	v_pk_mov_b32 v[22:23], v[54:55], v[54:55] op_sel:[0,1]
	v_pk_mov_b32 v[26:27], v[56:57], v[56:57] op_sel:[0,1]
	v_mul_f64 v[54:55], v[94:95], 0.5
	v_fma_f64 v[56:57], v[0:1], v[96:97], v[2:3]
	v_fmac_f64_e32 v[98:99], v[88:89], v[86:87]
	v_add_co_u32_e32 v44, vcc, -1, v44
	v_fmac_f64_e32 v[82:83], 0.5, v[94:95]
	v_mul_f64 v[94:95], v[100:101], 0.5
	v_fmac_f64_e32 v[84:85], v[56:57], v[54:55]
	v_fma_f64 v[56:57], 0.5, v[54:55], v[6:7]
	v_fmac_f64_e32 v[98:99], v[108:109], v[104:105]
	v_addc_co_u32_e32 v45, vcc, -1, v45, vcc
	v_fma_f64 v[96:97], v[0:1], v[102:103], v[2:3]
	v_fma_f64 v[102:103], v[38:39], v[104:105], v[10:11]
	v_fmac_f64_e32 v[92:93], v[54:55], v[80:81]
	v_fma_f64 v[80:81], 0.5, v[94:95], v[6:7]
	v_fmac_f64_e32 v[90:91], v[54:55], v[56:57]
	v_mul_f64 v[54:55], v[98:99], 0.5
	v_cmp_eq_u64_e32 vcc, 0, v[44:45]
	v_fmac_f64_e32 v[82:83], 0.5, v[100:101]
	v_fmac_f64_e32 v[84:85], v[96:97], v[94:95]
	v_fmac_f64_e32 v[92:93], v[94:95], v[102:103]
	;; [unrolled: 1-line block ×3, first 2 shown]
	v_mul_f64 v[54:55], v[54:55], s[16:17]
	v_add_u32_e32 v43, 8, v43
	s_or_b64 s[8:9], vcc, s[8:9]
	v_fmac_f64_e32 v[46:47], v[82:83], v[54:55]
	v_fmac_f64_e32 v[52:53], v[54:55], v[84:85]
	;; [unrolled: 1-line block ×4, first 2 shown]
	s_andn2_b64 exec, exec, s[8:9]
	s_cbranch_execnz .LBB0_450
; %bb.451:                              ;   in Loop: Header=BB0_292 Depth=1
	s_or_b64 exec, exec, s[8:9]
	v_fmac_f64_e32 v[16:17], v[4:5], v[46:47]
	v_fmac_f64_e32 v[18:19], v[4:5], v[52:53]
	v_fmac_f64_e32 v[12:13], v[4:5], v[50:51]
	v_fmac_f64_e32 v[14:15], v[4:5], v[48:49]
	s_branch .LBB0_291
.LBB0_452:
	s_or_b64 exec, exec, s[10:11]
.LBB0_453:
	s_or_b64 exec, exec, s[12:13]
	buffer_load_dword v21, off, s[0:3], 0 offset:4
	v_add_u32_e32 v52, 64, v66
	s_waitcnt vmcnt(0)
	v_and_b32_e32 v20, 1, v21
	v_cmp_eq_u32_e32 vcc, 1, v20
	v_mov_b32_e32 v20, 0
	s_and_saveexec_b64 s[6:7], vcc
	s_cbranch_execz .LBB0_455
; %bb.454:
	v_mov_b32_e32 v20, 0
	buffer_store_byte v20, off, s[0:3], 0 offset:16
	v_mov_b32_e32 v20, 1
.LBB0_455:
	s_or_b64 exec, exec, s[6:7]
	v_and_b32_e32 v22, 2, v21
	v_cmp_ne_u32_e32 vcc, 0, v22
	s_and_saveexec_b64 s[6:7], vcc
	s_cbranch_execz .LBB0_457
; %bb.456:
	v_add_u32_e32 v22, 1, v20
	v_or_b32_e32 v20, 16, v20
	v_mov_b32_e32 v23, 1
	buffer_store_byte v23, v20, s[0:3], 0 offen
	v_mov_b32_e32 v20, v22
.LBB0_457:
	s_or_b64 exec, exec, s[6:7]
	v_and_b32_e32 v22, 4, v21
	v_cmp_ne_u32_e32 vcc, 0, v22
	s_and_saveexec_b64 s[6:7], vcc
	s_cbranch_execz .LBB0_459
; %bb.458:
	v_or_b32_e32 v22, 16, v20
	v_add_u32_e32 v20, 1, v20
	v_mov_b32_e32 v23, 2
	buffer_store_byte v23, v22, s[0:3], 0 offen
.LBB0_459:
	s_or_b64 exec, exec, s[6:7]
	v_and_b32_e32 v22, 8, v21
	v_cmp_ne_u32_e32 vcc, 0, v22
	s_and_saveexec_b64 s[6:7], vcc
	s_cbranch_execz .LBB0_461
; %bb.460:
	v_or_b32_e32 v22, 16, v20
	v_add_u32_e32 v20, 1, v20
	v_mov_b32_e32 v23, 3
	buffer_store_byte v23, v22, s[0:3], 0 offen
.LBB0_461:
	s_or_b64 exec, exec, s[6:7]
	v_and_b32_e32 v22, 16, v21
	v_cmp_ne_u32_e32 vcc, 0, v22
	s_and_saveexec_b64 s[6:7], vcc
	s_cbranch_execz .LBB0_463
; %bb.462:
	v_or_b32_e32 v22, 16, v20
	v_add_u32_e32 v20, 1, v20
	v_mov_b32_e32 v23, 4
	buffer_store_byte v23, v22, s[0:3], 0 offen
.LBB0_463:
	s_or_b64 exec, exec, s[6:7]
	v_and_b32_e32 v22, 32, v21
	v_cmp_ne_u32_e32 vcc, 0, v22
	s_and_saveexec_b64 s[6:7], vcc
	s_cbranch_execz .LBB0_465
; %bb.464:
	v_add_u32_e32 v22, 16, v20
	v_add_u32_e32 v20, 1, v20
	v_mov_b32_e32 v23, 5
	buffer_store_byte v23, v22, s[0:3], 0 offen
.LBB0_465:
	s_or_b64 exec, exec, s[6:7]
	v_and_b32_e32 v22, 64, v21
	v_cmp_ne_u32_e32 vcc, 0, v22
	s_and_saveexec_b64 s[6:7], vcc
	s_cbranch_execz .LBB0_467
; %bb.466:
	v_add_u32_e32 v22, 16, v20
	v_add_u32_e32 v20, 1, v20
	v_mov_b32_e32 v23, 6
	buffer_store_byte v23, v22, s[0:3], 0 offen
.LBB0_467:
	;; [unrolled: 11-line block ×19, first 2 shown]
	s_or_b64 exec, exec, s[6:7]
	v_cmp_ne_u32_e32 vcc, 0, v20
	s_and_saveexec_b64 s[6:7], vcc
	s_cbranch_execz .LBB0_533
; %bb.502:
	v_add_f64 v[28:29], v[36:37], v[36:37]
	v_mul_f64 v[22:23], v[28:29], 0.5
	v_fma_f64 v[30:31], 0.5, v[22:23], v[6:7]
	v_fma_f64 v[24:25], v[28:29], 0.5, 0
	v_fma_f64 v[26:27], v[22:23], v[30:31], 0
	v_fmac_f64_e32 v[24:25], 0.5, v[28:29]
	v_fmac_f64_e32 v[26:27], v[22:23], v[30:31]
	s_mov_b32 s10, 0
	s_mov_b32 s12, 0x55555555
	v_mov_b32_e32 v21, 0
	v_fmac_f64_e32 v[24:25], 0.5, v[28:29]
	v_fmac_f64_e32 v[26:27], v[22:23], v[30:31]
	v_mov_b32_e32 v53, 16
	s_mov_b64 s[8:9], 0
	s_mov_b32 s11, 0x3fd00000
	v_mov_b32_e32 v54, 0xf0
	s_mov_b32 s13, 0x3fd55555
	s_branch .LBB0_505
.LBB0_503:                              ;   in Loop: Header=BB0_505 Depth=1
	s_or_b64 exec, exec, s[16:17]
	v_mov_b32_e32 v56, v55
	v_mov_b32_e32 v55, v67
.LBB0_504:                              ;   in Loop: Header=BB0_505 Depth=1
	s_or_b64 exec, exec, s[14:15]
	v_lshl_add_u32 v72, v56, 3, v54
	v_lshl_add_u32 v55, v55, 3, v54
	buffer_load_dword v56, v72, s[0:3], 0 offen
	buffer_load_dword v57, v72, s[0:3], 0 offen offset:4
	buffer_load_dword v67, v55, s[0:3], 0 offen offset:4
	;; [unrolled: 1-line block ×3, first 2 shown]
	buffer_load_dword v66, v55, s[0:3], 0 offen
	buffer_load_dword v71, v72, s[0:3], 0 offen offset:68
	buffer_load_dword v70, v72, s[0:3], 0 offen offset:64
	;; [unrolled: 1-line block ×3, first 2 shown]
	s_waitcnt vmcnt(20)
	v_add_f64 v[44:45], v[44:45], v[46:47]
	s_waitcnt vmcnt(17)
	v_add_f64 v[30:31], v[44:45], v[30:31]
	;; [unrolled: 2-line block ×3, first 2 shown]
	v_add_f64 v[28:29], v[30:31], v[28:29]
	s_waitcnt vmcnt(10)
	v_add_f64 v[42:43], v[46:47], v[42:43]
	v_fma_f64 v[28:29], v[28:29], s[10:11], -v[2:3]
	s_waitcnt vmcnt(8)
	v_add_f64 v[30:31], v[42:43], v[40:41]
	v_mul_f64 v[28:29], v[34:35], v[28:29]
	v_fma_f64 v[30:31], v[30:31], s[10:11], -v[10:11]
	ds_write2_b64 v58, v[36:37], v[36:37] offset0:20 offset1:22
	v_add_co_u32_e32 v20, vcc, -1, v20
	v_addc_co_u32_e32 v21, vcc, -1, v21, vcc
	v_cmp_eq_u64_e32 vcc, 0, v[20:21]
	s_or_b64 s[8:9], vcc, s[8:9]
	v_add_u32_e32 v53, 1, v53
	s_waitcnt vmcnt(3)
	v_add_f64 v[42:43], v[66:67], -v[2:3]
	v_mul_f64 v[50:51], v[34:35], v[42:43]
	v_add_f64 v[40:41], v[56:57], -v[2:3]
	s_waitcnt vmcnt(0)
	v_add_f64 v[46:47], v[68:69], -v[10:11]
	v_add_f64 v[44:45], v[70:71], -v[10:11]
	v_mul_f64 v[48:49], v[34:35], v[40:41]
	v_mul_f64 v[46:47], v[8:9], v[46:47]
	v_fma_f64 v[66:67], v[34:35], v[40:41], v[28:29]
	v_fma_f64 v[68:69], v[34:35], v[42:43], v[28:29]
	v_mul_f64 v[56:57], v[8:9], v[44:45]
	v_fma_f64 v[70:71], -v[34:35], v[42:43], v[28:29]
	ds_write2_b64 v58, v[48:49], v[50:51] offset1:2
	ds_write2_b64 v58, v[56:57], v[46:47] offset0:10 offset1:12
	v_fma_f64 v[50:51], v[0:1], v[66:67], v[2:3]
	v_fma_f64 v[66:67], v[0:1], v[68:69], v[2:3]
	;; [unrolled: 1-line block ×3, first 2 shown]
	v_fma_f64 v[40:41], v[34:35], v[40:41], -v[28:29]
	v_fmac_f64_e32 v[56:57], v[8:9], v[30:31]
	v_fmac_f64_e32 v[46:47], v[8:9], v[44:45]
	v_fma_f64 v[44:45], v[22:23], v[50:51], 0
	v_fma_f64 v[50:51], v[38:39], v[68:69], v[10:11]
	v_mul_f64 v[68:69], v[70:71], v[68:69]
	v_fma_f64 v[72:73], v[34:35], v[42:43], v[48:49]
	v_fma_f64 v[42:43], v[34:35], v[42:43], -v[48:49]
	v_fma_f64 v[48:49], v[38:39], v[56:57], v[10:11]
	v_fmac_f64_e32 v[68:69], v[40:41], v[56:57]
	v_fma_f64 v[48:49], v[22:23], v[48:49], 0
	v_fmac_f64_e32 v[68:69], v[42:43], v[46:47]
	v_fma_f64 v[72:73], v[0:1], v[72:73], v[2:3]
	v_fma_f64 v[74:75], v[38:39], v[46:47], v[10:11]
	v_fmac_f64_e32 v[44:45], v[22:23], v[66:67]
	v_fmac_f64_e32 v[48:49], v[22:23], v[50:51]
	v_mul_f64 v[40:41], v[68:69], 0.5
	v_fmac_f64_e32 v[44:45], v[22:23], v[72:73]
	v_fmac_f64_e32 v[48:49], v[22:23], v[74:75]
	v_mul_f64 v[40:41], v[40:41], s[12:13]
	v_fma_f64 v[42:43], v[24:25], v[40:41], 0
	v_fma_f64 v[44:45], v[44:45], v[40:41], 0
	;; [unrolled: 1-line block ×4, first 2 shown]
	v_fmac_f64_e32 v[16:17], v[4:5], v[42:43]
	v_fmac_f64_e32 v[18:19], v[4:5], v[44:45]
	;; [unrolled: 1-line block ×4, first 2 shown]
	s_andn2_b64 exec, exec, s[8:9]
	s_cbranch_execz .LBB0_532
.LBB0_505:                              ; =>This Inner Loop Header: Depth=1
	buffer_load_ubyte v56, v53, s[0:3], 0 offen
                                        ; implicit-def: $vgpr66
                                        ; implicit-def: $vgpr40
                                        ; implicit-def: $vgpr57
                                        ; implicit-def: $vgpr41
                                        ; implicit-def: $vgpr67
                                        ; implicit-def: $vgpr43
                                        ; implicit-def: $vgpr42
	s_waitcnt vmcnt(0)
	v_lshrrev_b32_e32 v55, 2, v56
	v_cmp_lt_i32_e32 vcc, 1, v55
	s_and_saveexec_b64 s[14:15], vcc
	s_xor_b64 s[14:15], exec, s[14:15]
	s_cbranch_execz .LBB0_519
; %bb.506:                              ;   in Loop: Header=BB0_505 Depth=1
	v_cmp_lt_i32_e32 vcc, 2, v55
                                        ; implicit-def: $vgpr66
                                        ; implicit-def: $vgpr40
                                        ; implicit-def: $vgpr57
                                        ; implicit-def: $vgpr41
                                        ; implicit-def: $vgpr67
                                        ; implicit-def: $vgpr43
                                        ; implicit-def: $vgpr42
	s_and_saveexec_b64 s[16:17], vcc
	s_xor_b64 s[16:17], exec, s[16:17]
	s_cbranch_execz .LBB0_516
; %bb.507:                              ;   in Loop: Header=BB0_505 Depth=1
	v_cmp_lt_i32_e32 vcc, 3, v55
                                        ; implicit-def: $vgpr66
                                        ; implicit-def: $vgpr40
                                        ; implicit-def: $vgpr57
                                        ; implicit-def: $vgpr41
                                        ; implicit-def: $vgpr67
                                        ; implicit-def: $vgpr43
                                        ; implicit-def: $vgpr42
	s_and_saveexec_b64 s[18:19], vcc
	s_xor_b64 s[18:19], exec, s[18:19]
	s_cbranch_execz .LBB0_513
; %bb.508:                              ;   in Loop: Header=BB0_505 Depth=1
	v_cmp_ne_u32_e32 vcc, 4, v55
                                        ; implicit-def: $sgpr22
                                        ; implicit-def: $sgpr23
                                        ; implicit-def: $sgpr24
                                        ; implicit-def: $sgpr25
	s_and_saveexec_b64 s[20:21], vcc
	s_xor_b64 s[20:21], exec, s[20:21]
; %bb.509:                              ;   in Loop: Header=BB0_505 Depth=1
	s_mov_b32 s25, 4
	s_mov_b32 s24, 6
	;; [unrolled: 1-line block ×4, first 2 shown]
; %bb.510:                              ;   in Loop: Header=BB0_505 Depth=1
	s_or_saveexec_b64 s[20:21], s[20:21]
	v_mov_b32_e32 v66, s22
	v_mov_b32_e32 v57, s23
	;; [unrolled: 1-line block ×8, first 2 shown]
	s_xor_b64 exec, exec, s[20:21]
; %bb.511:                              ;   in Loop: Header=BB0_505 Depth=1
	v_mov_b32_e32 v42, 0xf0
	v_mov_b32_e32 v66, 2
	v_mov_b32_e32 v57, 3
	v_mov_b32_e32 v67, 1
	v_mov_b32_e32 v55, 0
	v_mov_b32_e32 v40, v60
	v_mov_b32_e32 v41, v63
	v_mov_b32_e32 v43, v62
; %bb.512:                              ;   in Loop: Header=BB0_505 Depth=1
	s_or_b64 exec, exec, s[20:21]
.LBB0_513:                              ;   in Loop: Header=BB0_505 Depth=1
	s_andn2_saveexec_b64 s[18:19], s[18:19]
; %bb.514:                              ;   in Loop: Header=BB0_505 Depth=1
	v_mov_b32_e32 v66, 6
	v_mov_b32_e32 v57, 7
	;; [unrolled: 1-line block ×8, first 2 shown]
; %bb.515:                              ;   in Loop: Header=BB0_505 Depth=1
	s_or_b64 exec, exec, s[18:19]
.LBB0_516:                              ;   in Loop: Header=BB0_505 Depth=1
	s_andn2_saveexec_b64 s[16:17], s[16:17]
; %bb.517:                              ;   in Loop: Header=BB0_505 Depth=1
	v_mov_b32_e32 v42, 0xf0
	v_mov_b32_e32 v66, 1
	;; [unrolled: 1-line block ×8, first 2 shown]
; %bb.518:                              ;   in Loop: Header=BB0_505 Depth=1
	s_or_b64 exec, exec, s[16:17]
.LBB0_519:                              ;   in Loop: Header=BB0_505 Depth=1
	s_andn2_saveexec_b64 s[14:15], s[14:15]
	s_cbranch_execz .LBB0_523
; %bb.520:                              ;   in Loop: Header=BB0_505 Depth=1
	v_cmp_lt_i32_e32 vcc, 0, v55
	v_mov_b32_e32 v42, 0xf0
	v_mov_b32_e32 v66, 4
	;; [unrolled: 1-line block ×7, first 2 shown]
	s_and_saveexec_b64 s[16:17], vcc
; %bb.521:                              ;   in Loop: Header=BB0_505 Depth=1
	v_mov_b32_e32 v66, 3
	v_mov_b32_e32 v57, 7
	;; [unrolled: 1-line block ×8, first 2 shown]
; %bb.522:                              ;   in Loop: Header=BB0_505 Depth=1
	s_or_b64 exec, exec, s[16:17]
.LBB0_523:                              ;   in Loop: Header=BB0_505 Depth=1
	s_or_b64 exec, exec, s[14:15]
	v_lshl_add_u32 v68, v55, 3, v52
	buffer_load_dword v45, v42, s[0:3], 0 offen offset:4
	buffer_load_dword v44, v42, s[0:3], 0 offen
	buffer_load_dword v47, v43, s[0:3], 0 offen offset:4
	buffer_load_dword v46, v43, s[0:3], 0 offen
	;; [unrolled: 2-line block ×3, first 2 shown]
	buffer_load_dword v30, v41, s[0:3], 0 offen
	buffer_load_dword v29, v40, s[0:3], 0 offen offset:4
	v_lshl_add_u32 v69, v67, 3, v52
	v_lshl_add_u32 v70, v57, 3, v52
	;; [unrolled: 1-line block ×3, first 2 shown]
	buffer_load_dword v48, v68, s[0:3], 0 offen
	buffer_load_dword v49, v68, s[0:3], 0 offen offset:4
	buffer_load_dword v50, v69, s[0:3], 0 offen
	buffer_load_dword v51, v69, s[0:3], 0 offen offset:4
	;; [unrolled: 2-line block ×4, first 2 shown]
	v_and_b32_e32 v68, 3, v56
	v_cmp_lt_i32_e32 vcc, 1, v68
                                        ; implicit-def: $vgpr56
	s_and_saveexec_b64 s[14:15], vcc
	s_xor_b64 s[14:15], exec, s[14:15]
	s_cbranch_execz .LBB0_529
; %bb.524:                              ;   in Loop: Header=BB0_505 Depth=1
	v_cmp_lt_i32_e32 vcc, 2, v68
	s_and_saveexec_b64 s[16:17], vcc
	s_xor_b64 s[16:17], exec, s[16:17]
; %bb.525:                              ;   in Loop: Header=BB0_505 Depth=1
                                        ; implicit-def: $vgpr57
; %bb.526:                              ;   in Loop: Header=BB0_505 Depth=1
	s_or_saveexec_b64 s[16:17], s[16:17]
	v_mov_b32_e32 v56, v66
	s_xor_b64 exec, exec, s[16:17]
; %bb.527:                              ;   in Loop: Header=BB0_505 Depth=1
	v_mov_b32_e32 v56, v57
	v_mov_b32_e32 v55, v66
; %bb.528:                              ;   in Loop: Header=BB0_505 Depth=1
	s_or_b64 exec, exec, s[16:17]
                                        ; implicit-def: $vgpr67
                                        ; implicit-def: $vgpr57
                                        ; implicit-def: $vgpr68
.LBB0_529:                              ;   in Loop: Header=BB0_505 Depth=1
	s_andn2_saveexec_b64 s[14:15], s[14:15]
	s_cbranch_execz .LBB0_504
; %bb.530:                              ;   in Loop: Header=BB0_505 Depth=1
	v_cmp_eq_u32_e32 vcc, 1, v68
	s_and_saveexec_b64 s[16:17], vcc
	s_cbranch_execz .LBB0_503
; %bb.531:                              ;   in Loop: Header=BB0_505 Depth=1
	v_mov_b32_e32 v55, v67
	v_mov_b32_e32 v67, v57
	s_branch .LBB0_503
.LBB0_532:
	s_or_b64 exec, exec, s[8:9]
	v_mul_f64 v[20:21], v[8:9], v[30:31]
	ds_write2_b64 v58, v[28:29], v[20:21] offset0:1 offset1:11
	ds_write_b64 v58, v[36:37] offset:168
.LBB0_533:
	s_or_b64 exec, exec, s[6:7]
	buffer_load_dword v21, off, s[0:3], 0
	s_waitcnt vmcnt(0)
	v_and_b32_e32 v20, 1, v21
	v_cmp_eq_u32_e32 vcc, 1, v20
	v_mov_b32_e32 v20, 0
	s_and_saveexec_b64 s[6:7], vcc
	s_cbranch_execz .LBB0_535
; %bb.534:
	v_mov_b32_e32 v20, 0
	buffer_store_byte v20, off, s[0:3], 0 offset:16
	v_mov_b32_e32 v20, 1
.LBB0_535:
	s_or_b64 exec, exec, s[6:7]
	v_and_b32_e32 v22, 2, v21
	v_cmp_ne_u32_e32 vcc, 0, v22
	s_and_saveexec_b64 s[6:7], vcc
	s_cbranch_execz .LBB0_537
; %bb.536:
	v_add_u32_e32 v22, 1, v20
	v_or_b32_e32 v20, 16, v20
	v_mov_b32_e32 v23, 1
	buffer_store_byte v23, v20, s[0:3], 0 offen
	v_mov_b32_e32 v20, v22
.LBB0_537:
	s_or_b64 exec, exec, s[6:7]
	v_and_b32_e32 v22, 4, v21
	v_cmp_ne_u32_e32 vcc, 0, v22
	s_and_saveexec_b64 s[6:7], vcc
	s_cbranch_execz .LBB0_539
; %bb.538:
	v_or_b32_e32 v22, 16, v20
	v_add_u32_e32 v20, 1, v20
	v_mov_b32_e32 v23, 2
	buffer_store_byte v23, v22, s[0:3], 0 offen
.LBB0_539:
	s_or_b64 exec, exec, s[6:7]
	v_and_b32_e32 v22, 8, v21
	v_cmp_ne_u32_e32 vcc, 0, v22
	s_and_saveexec_b64 s[6:7], vcc
	s_cbranch_execz .LBB0_541
; %bb.540:
	v_or_b32_e32 v22, 16, v20
	v_add_u32_e32 v20, 1, v20
	v_mov_b32_e32 v23, 3
	buffer_store_byte v23, v22, s[0:3], 0 offen
.LBB0_541:
	;; [unrolled: 11-line block ×3, first 2 shown]
	s_or_b64 exec, exec, s[6:7]
	v_and_b32_e32 v22, 32, v21
	v_cmp_ne_u32_e32 vcc, 0, v22
	s_and_saveexec_b64 s[6:7], vcc
	s_cbranch_execz .LBB0_545
; %bb.544:
	v_add_u32_e32 v22, 16, v20
	v_add_u32_e32 v20, 1, v20
	v_mov_b32_e32 v23, 5
	buffer_store_byte v23, v22, s[0:3], 0 offen
.LBB0_545:
	s_or_b64 exec, exec, s[6:7]
	v_and_b32_e32 v22, 64, v21
	v_cmp_ne_u32_e32 vcc, 0, v22
	s_and_saveexec_b64 s[6:7], vcc
	s_cbranch_execz .LBB0_547
; %bb.546:
	v_add_u32_e32 v22, 16, v20
	v_add_u32_e32 v20, 1, v20
	v_mov_b32_e32 v23, 6
	buffer_store_byte v23, v22, s[0:3], 0 offen
.LBB0_547:
	;; [unrolled: 11-line block ×19, first 2 shown]
	s_or_b64 exec, exec, s[6:7]
	v_cmp_ne_u32_e32 vcc, 0, v20
	s_and_saveexec_b64 s[6:7], vcc
	s_cbranch_execz .LBB0_613
; %bb.582:
	s_mov_b32 s10, 0
	s_mov_b32 s12, 0x55555555
	v_mov_b32_e32 v21, 0
	v_mov_b32_e32 v52, 16
	s_mov_b64 s[8:9], 0
	v_mov_b32_e32 v53, 0xf0
	s_mov_b32 s11, 0x3fd00000
	s_mov_b32 s13, 0x3fd55555
	s_branch .LBB0_585
.LBB0_583:                              ;   in Loop: Header=BB0_585 Depth=1
	s_or_b64 exec, exec, s[16:17]
	v_mov_b32_e32 v55, v54
	v_mov_b32_e32 v54, v66
.LBB0_584:                              ;   in Loop: Header=BB0_585 Depth=1
	s_or_b64 exec, exec, s[14:15]
	v_lshl_add_u32 v74, v55, 3, v53
	v_lshl_add_u32 v75, v54, 3, v53
	buffer_load_dword v56, v74, s[0:3], 0 offen
	buffer_load_dword v57, v74, s[0:3], 0 offen offset:4
	buffer_load_dword v54, v75, s[0:3], 0 offen
	buffer_load_dword v55, v75, s[0:3], 0 offen offset:4
	buffer_load_dword v66, v74, s[0:3], 0 offen offset:128
	;; [unrolled: 1-line block ×9, first 2 shown]
	s_waitcnt vmcnt(32)
	v_add_f64 v[22:23], v[22:23], v[28:29]
	s_waitcnt vmcnt(19)
	v_add_f64 v[28:29], v[30:31], v[42:43]
	;; [unrolled: 2-line block ×3, first 2 shown]
	v_add_f64 v[22:23], v[22:23], v[26:27]
	v_add_f64 v[26:27], v[28:29], v[36:37]
	s_waitcnt vmcnt(12)
	v_add_f64 v[28:29], v[30:31], v[50:51]
	v_add_f64 v[22:23], v[22:23], v[24:25]
	;; [unrolled: 1-line block ×4, first 2 shown]
	v_fma_f64 v[28:29], v[22:23], s[10:11], -v[2:3]
	v_fma_f64 v[24:25], v[24:25], s[10:11], -v[10:11]
	v_fma_f64 v[22:23], v[26:27], s[10:11], -v[6:7]
	v_mul_f64 v[26:27], v[34:35], v[28:29]
	v_add_co_u32_e32 v20, vcc, -1, v20
	v_addc_co_u32_e32 v21, vcc, -1, v21, vcc
	v_cmp_eq_u64_e32 vcc, 0, v[20:21]
	s_or_b64 s[8:9], vcc, s[8:9]
	v_add_u32_e32 v52, 1, v52
	s_waitcnt vmcnt(8)
	v_add_f64 v[30:31], v[54:55], -v[2:3]
	v_mul_f64 v[48:49], v[34:35], v[30:31]
	s_waitcnt vmcnt(5)
	v_add_f64 v[36:37], v[68:69], -v[10:11]
	v_mul_f64 v[50:51], v[8:9], v[36:37]
	v_fma_f64 v[68:69], v[34:35], v[30:31], v[26:27]
	s_waitcnt vmcnt(2)
	v_add_f64 v[40:41], v[72:73], -v[10:11]
	v_add_f64 v[28:29], v[56:57], -v[2:3]
	s_waitcnt vmcnt(1)
	v_add_f64 v[42:43], v[66:67], -v[6:7]
	s_waitcnt vmcnt(0)
	v_add_f64 v[44:45], v[70:71], -v[6:7]
	v_mul_f64 v[40:41], v[8:9], v[40:41]
	v_mul_f64 v[46:47], v[34:35], v[28:29]
	ds_write2_b64 v58, v[42:43], v[44:45] offset0:20 offset1:22
	v_add_f64 v[54:55], v[22:23], v[42:43]
	v_fma_f64 v[56:57], v[34:35], v[28:29], v[26:27]
	v_add_f64 v[66:67], v[22:23], v[44:45]
	v_add_f64 v[42:43], v[42:43], v[44:45]
	v_fma_f64 v[44:45], -v[34:35], v[30:31], v[26:27]
	v_fma_f64 v[72:73], v[8:9], v[24:25], v[40:41]
	v_fma_f64 v[28:29], v[34:35], v[28:29], -v[26:27]
	ds_write2_b64 v58, v[46:47], v[48:49] offset1:2
	ds_write2_b64 v58, v[50:51], v[40:41] offset0:10 offset1:12
	v_mul_f64 v[48:49], v[54:55], 0.5
	v_fma_f64 v[56:57], v[0:1], v[56:57], v[2:3]
	v_fmac_f64_e32 v[50:51], v[8:9], v[24:25]
	v_mul_f64 v[44:45], v[44:45], v[72:73]
	v_fma_f64 v[54:55], v[54:55], 0.5, 0
	v_mul_f64 v[70:71], v[66:67], 0.5
	v_fma_f64 v[76:77], v[34:35], v[30:31], v[46:47]
	v_fmac_f64_e32 v[40:41], v[8:9], v[36:37]
	v_fma_f64 v[30:31], v[34:35], v[30:31], -v[46:47]
	v_fma_f64 v[36:37], v[56:57], v[48:49], 0
	v_fma_f64 v[46:47], v[38:39], v[50:51], v[10:11]
	v_fma_f64 v[56:57], 0.5, v[48:49], v[6:7]
	v_fmac_f64_e32 v[44:45], v[28:29], v[50:51]
	v_fma_f64 v[68:69], v[0:1], v[68:69], v[2:3]
	v_mul_f64 v[74:75], v[42:43], 0.5
	v_fmac_f64_e32 v[54:55], 0.5, v[66:67]
	v_fma_f64 v[66:67], v[38:39], v[72:73], v[10:11]
	v_fma_f64 v[78:79], 0.5, v[70:71], v[6:7]
	v_fma_f64 v[46:47], v[46:47], v[48:49], 0
	v_fma_f64 v[48:49], v[48:49], v[56:57], 0
	v_fmac_f64_e32 v[44:45], v[30:31], v[40:41]
	v_fma_f64 v[76:77], v[0:1], v[76:77], v[2:3]
	v_fma_f64 v[80:81], v[38:39], v[40:41], v[10:11]
	v_fma_f64 v[82:83], 0.5, v[74:75], v[6:7]
	v_fmac_f64_e32 v[36:37], v[68:69], v[70:71]
	v_fmac_f64_e32 v[46:47], v[66:67], v[70:71]
	;; [unrolled: 1-line block ×3, first 2 shown]
	v_mul_f64 v[28:29], v[44:45], 0.5
	v_fmac_f64_e32 v[54:55], 0.5, v[42:43]
	v_fmac_f64_e32 v[36:37], v[76:77], v[74:75]
	v_fmac_f64_e32 v[46:47], v[80:81], v[74:75]
	;; [unrolled: 1-line block ×3, first 2 shown]
	v_mul_f64 v[28:29], v[28:29], s[12:13]
	v_fma_f64 v[30:31], v[28:29], v[54:55], 0
	v_fma_f64 v[36:37], v[28:29], v[36:37], 0
	;; [unrolled: 1-line block ×4, first 2 shown]
	v_fmac_f64_e32 v[16:17], v[4:5], v[30:31]
	v_fmac_f64_e32 v[18:19], v[4:5], v[36:37]
	;; [unrolled: 1-line block ×4, first 2 shown]
	s_andn2_b64 exec, exec, s[8:9]
	s_cbranch_execz .LBB0_612
.LBB0_585:                              ; =>This Inner Loop Header: Depth=1
	buffer_load_ubyte v55, v52, s[0:3], 0 offen
                                        ; implicit-def: $vgpr57
                                        ; implicit-def: $vgpr30
                                        ; implicit-def: $vgpr56
                                        ; implicit-def: $vgpr31
                                        ; implicit-def: $vgpr66
                                        ; implicit-def: $vgpr37
                                        ; implicit-def: $vgpr36
	s_waitcnt vmcnt(0)
	v_lshrrev_b32_e32 v54, 2, v55
	v_cmp_lt_i32_e32 vcc, 1, v54
	s_and_saveexec_b64 s[14:15], vcc
	s_xor_b64 s[14:15], exec, s[14:15]
	s_cbranch_execz .LBB0_599
; %bb.586:                              ;   in Loop: Header=BB0_585 Depth=1
	v_cmp_lt_i32_e32 vcc, 2, v54
                                        ; implicit-def: $vgpr57
                                        ; implicit-def: $vgpr30
                                        ; implicit-def: $vgpr56
                                        ; implicit-def: $vgpr31
                                        ; implicit-def: $vgpr66
                                        ; implicit-def: $vgpr37
                                        ; implicit-def: $vgpr36
	s_and_saveexec_b64 s[16:17], vcc
	s_xor_b64 s[16:17], exec, s[16:17]
	s_cbranch_execz .LBB0_596
; %bb.587:                              ;   in Loop: Header=BB0_585 Depth=1
	v_cmp_lt_i32_e32 vcc, 3, v54
                                        ; implicit-def: $vgpr57
                                        ; implicit-def: $vgpr30
                                        ; implicit-def: $vgpr56
                                        ; implicit-def: $vgpr31
                                        ; implicit-def: $vgpr66
                                        ; implicit-def: $vgpr37
                                        ; implicit-def: $vgpr36
	s_and_saveexec_b64 s[18:19], vcc
	s_xor_b64 s[18:19], exec, s[18:19]
	s_cbranch_execz .LBB0_593
; %bb.588:                              ;   in Loop: Header=BB0_585 Depth=1
	v_cmp_ne_u32_e32 vcc, 4, v54
                                        ; implicit-def: $sgpr22
                                        ; implicit-def: $sgpr23
                                        ; implicit-def: $sgpr24
                                        ; implicit-def: $sgpr25
	s_and_saveexec_b64 s[20:21], vcc
	s_xor_b64 s[20:21], exec, s[20:21]
; %bb.589:                              ;   in Loop: Header=BB0_585 Depth=1
	s_mov_b32 s25, 4
	s_mov_b32 s24, 6
	;; [unrolled: 1-line block ×4, first 2 shown]
; %bb.590:                              ;   in Loop: Header=BB0_585 Depth=1
	s_or_saveexec_b64 s[20:21], s[20:21]
	v_mov_b32_e32 v57, s22
	v_mov_b32_e32 v56, s23
	;; [unrolled: 1-line block ×8, first 2 shown]
	s_xor_b64 exec, exec, s[20:21]
; %bb.591:                              ;   in Loop: Header=BB0_585 Depth=1
	v_mov_b32_e32 v36, 0xf0
	v_mov_b32_e32 v57, 2
	;; [unrolled: 1-line block ×8, first 2 shown]
; %bb.592:                              ;   in Loop: Header=BB0_585 Depth=1
	s_or_b64 exec, exec, s[20:21]
.LBB0_593:                              ;   in Loop: Header=BB0_585 Depth=1
	s_andn2_saveexec_b64 s[18:19], s[18:19]
; %bb.594:                              ;   in Loop: Header=BB0_585 Depth=1
	v_mov_b32_e32 v57, 6
	v_mov_b32_e32 v56, 7
	;; [unrolled: 1-line block ×8, first 2 shown]
; %bb.595:                              ;   in Loop: Header=BB0_585 Depth=1
	s_or_b64 exec, exec, s[18:19]
.LBB0_596:                              ;   in Loop: Header=BB0_585 Depth=1
	s_andn2_saveexec_b64 s[16:17], s[16:17]
; %bb.597:                              ;   in Loop: Header=BB0_585 Depth=1
	v_mov_b32_e32 v36, 0xf0
	v_mov_b32_e32 v57, 1
	;; [unrolled: 1-line block ×8, first 2 shown]
; %bb.598:                              ;   in Loop: Header=BB0_585 Depth=1
	s_or_b64 exec, exec, s[16:17]
.LBB0_599:                              ;   in Loop: Header=BB0_585 Depth=1
	s_andn2_saveexec_b64 s[14:15], s[14:15]
	s_cbranch_execz .LBB0_603
; %bb.600:                              ;   in Loop: Header=BB0_585 Depth=1
	v_cmp_lt_i32_e32 vcc, 0, v54
	v_mov_b32_e32 v36, 0xf0
	v_mov_b32_e32 v57, 4
	v_mov_b32_e32 v56, 6
	v_mov_b32_e32 v66, 2
	v_mov_b32_e32 v30, v64
	v_mov_b32_e32 v31, v61
	v_mov_b32_e32 v37, v60
	s_and_saveexec_b64 s[16:17], vcc
; %bb.601:                              ;   in Loop: Header=BB0_585 Depth=1
	v_mov_b32_e32 v57, 3
	v_mov_b32_e32 v56, 7
	;; [unrolled: 1-line block ×8, first 2 shown]
; %bb.602:                              ;   in Loop: Header=BB0_585 Depth=1
	s_or_b64 exec, exec, s[16:17]
.LBB0_603:                              ;   in Loop: Header=BB0_585 Depth=1
	s_or_b64 exec, exec, s[14:15]
	v_lshl_add_u32 v67, v54, 3, v53
	v_lshl_add_u32 v68, v66, 3, v53
	;; [unrolled: 1-line block ×4, first 2 shown]
	buffer_load_dword v23, v36, s[0:3], 0 offen offset:4
	buffer_load_dword v22, v36, s[0:3], 0 offen
	buffer_load_dword v29, v37, s[0:3], 0 offen offset:4
	buffer_load_dword v28, v37, s[0:3], 0 offen
	;; [unrolled: 2-line block ×3, first 2 shown]
	buffer_load_dword v26, v31, s[0:3], 0 offen
	buffer_load_dword v25, v30, s[0:3], 0 offen offset:4
	s_nop 0
	buffer_load_dword v30, v67, s[0:3], 0 offen offset:64
	buffer_load_dword v31, v67, s[0:3], 0 offen offset:68
	;; [unrolled: 1-line block ×16, first 2 shown]
	v_and_b32_e32 v67, 3, v55
	v_cmp_lt_i32_e32 vcc, 1, v67
                                        ; implicit-def: $vgpr55
	s_and_saveexec_b64 s[14:15], vcc
	s_xor_b64 s[14:15], exec, s[14:15]
	s_cbranch_execz .LBB0_609
; %bb.604:                              ;   in Loop: Header=BB0_585 Depth=1
	v_cmp_lt_i32_e32 vcc, 2, v67
	s_and_saveexec_b64 s[16:17], vcc
	s_xor_b64 s[16:17], exec, s[16:17]
; %bb.605:                              ;   in Loop: Header=BB0_585 Depth=1
                                        ; implicit-def: $vgpr56
; %bb.606:                              ;   in Loop: Header=BB0_585 Depth=1
	s_or_saveexec_b64 s[16:17], s[16:17]
	v_mov_b32_e32 v55, v57
	s_xor_b64 exec, exec, s[16:17]
; %bb.607:                              ;   in Loop: Header=BB0_585 Depth=1
	v_mov_b32_e32 v55, v56
	v_mov_b32_e32 v54, v57
; %bb.608:                              ;   in Loop: Header=BB0_585 Depth=1
	s_or_b64 exec, exec, s[16:17]
                                        ; implicit-def: $vgpr66
                                        ; implicit-def: $vgpr56
                                        ; implicit-def: $vgpr67
.LBB0_609:                              ;   in Loop: Header=BB0_585 Depth=1
	s_andn2_saveexec_b64 s[14:15], s[14:15]
	s_cbranch_execz .LBB0_584
; %bb.610:                              ;   in Loop: Header=BB0_585 Depth=1
	v_cmp_eq_u32_e32 vcc, 1, v67
	s_and_saveexec_b64 s[16:17], vcc
	s_cbranch_execz .LBB0_583
; %bb.611:                              ;   in Loop: Header=BB0_585 Depth=1
	v_mov_b32_e32 v54, v66
	v_mov_b32_e32 v66, v56
	s_branch .LBB0_583
.LBB0_612:
	s_or_b64 exec, exec, s[8:9]
	v_mul_f64 v[0:1], v[8:9], v[24:25]
	ds_write2_b64 v58, v[26:27], v[0:1] offset0:1 offset1:11
	ds_write_b64 v58, v[22:23] offset:168
.LBB0_613:
	s_or_b64 exec, exec, s[6:7]
	s_load_dwordx2 s[4:5], s[4:5], 0x40
	v_lshlrev_b64 v[0:1], 5, v[32:33]
	s_waitcnt lgkmcnt(0)
	v_mov_b32_e32 v2, s5
	v_add_co_u32_e32 v0, vcc, s4, v0
	v_addc_co_u32_e32 v1, vcc, v2, v1, vcc
	global_store_dwordx4 v[0:1], v[16:19], off
	global_store_dwordx4 v[0:1], v[12:15], off offset:16
.LBB0_614:
	s_endpgm
	.section	.rodata,"a",@progbits
	.p2align	6, 0x0
	.amdhsa_kernel _ZN8rajaperf4apps17intsc_hexrect_hipILm64EEEvPdS2_S2_PiPcS3_S3_lS2_
		.amdhsa_group_segment_fixed_size 15872
		.amdhsa_private_segment_fixed_size 448
		.amdhsa_kernarg_size 72
		.amdhsa_user_sgpr_count 8
		.amdhsa_user_sgpr_private_segment_buffer 1
		.amdhsa_user_sgpr_dispatch_ptr 0
		.amdhsa_user_sgpr_queue_ptr 0
		.amdhsa_user_sgpr_kernarg_segment_ptr 1
		.amdhsa_user_sgpr_dispatch_id 0
		.amdhsa_user_sgpr_flat_scratch_init 1
		.amdhsa_user_sgpr_kernarg_preload_length 0
		.amdhsa_user_sgpr_kernarg_preload_offset 0
		.amdhsa_user_sgpr_private_segment_size 0
		.amdhsa_uses_dynamic_stack 0
		.amdhsa_system_sgpr_private_segment_wavefront_offset 1
		.amdhsa_system_sgpr_workgroup_id_x 1
		.amdhsa_system_sgpr_workgroup_id_y 0
		.amdhsa_system_sgpr_workgroup_id_z 0
		.amdhsa_system_sgpr_workgroup_info 0
		.amdhsa_system_vgpr_workitem_id 0
		.amdhsa_next_free_vgpr 125
		.amdhsa_next_free_sgpr 32
		.amdhsa_accum_offset 128
		.amdhsa_reserve_vcc 1
		.amdhsa_reserve_flat_scratch 0
		.amdhsa_float_round_mode_32 0
		.amdhsa_float_round_mode_16_64 0
		.amdhsa_float_denorm_mode_32 3
		.amdhsa_float_denorm_mode_16_64 3
		.amdhsa_dx10_clamp 1
		.amdhsa_ieee_mode 1
		.amdhsa_fp16_overflow 0
		.amdhsa_tg_split 0
		.amdhsa_exception_fp_ieee_invalid_op 0
		.amdhsa_exception_fp_denorm_src 0
		.amdhsa_exception_fp_ieee_div_zero 0
		.amdhsa_exception_fp_ieee_overflow 0
		.amdhsa_exception_fp_ieee_underflow 0
		.amdhsa_exception_fp_ieee_inexact 0
		.amdhsa_exception_int_div_zero 0
	.end_amdhsa_kernel
	.section	.text._ZN8rajaperf4apps17intsc_hexrect_hipILm64EEEvPdS2_S2_PiPcS3_S3_lS2_,"axG",@progbits,_ZN8rajaperf4apps17intsc_hexrect_hipILm64EEEvPdS2_S2_PiPcS3_S3_lS2_,comdat
.Lfunc_end0:
	.size	_ZN8rajaperf4apps17intsc_hexrect_hipILm64EEEvPdS2_S2_PiPcS3_S3_lS2_, .Lfunc_end0-_ZN8rajaperf4apps17intsc_hexrect_hipILm64EEEvPdS2_S2_PiPcS3_S3_lS2_
                                        ; -- End function
	.section	.AMDGPU.csdata,"",@progbits
; Kernel info:
; codeLenInByte = 29912
; NumSgprs: 36
; NumVgprs: 125
; NumAgprs: 0
; TotalNumVgprs: 125
; ScratchSize: 448
; MemoryBound: 0
; FloatMode: 240
; IeeeMode: 1
; LDSByteSize: 15872 bytes/workgroup (compile time only)
; SGPRBlocks: 4
; VGPRBlocks: 15
; NumSGPRsForWavesPerEU: 36
; NumVGPRsForWavesPerEU: 125
; AccumOffset: 128
; Occupancy: 1
; WaveLimiterHint : 1
; COMPUTE_PGM_RSRC2:SCRATCH_EN: 1
; COMPUTE_PGM_RSRC2:USER_SGPR: 8
; COMPUTE_PGM_RSRC2:TRAP_HANDLER: 0
; COMPUTE_PGM_RSRC2:TGID_X_EN: 1
; COMPUTE_PGM_RSRC2:TGID_Y_EN: 0
; COMPUTE_PGM_RSRC2:TGID_Z_EN: 0
; COMPUTE_PGM_RSRC2:TIDIG_COMP_CNT: 0
; COMPUTE_PGM_RSRC3_GFX90A:ACCUM_OFFSET: 31
; COMPUTE_PGM_RSRC3_GFX90A:TG_SPLIT: 0
	.section	.text._ZN8rajaperf17lambda_hip_forallILm64EZNS_4apps13INTSC_HEXRECT17runHipVariantImplILm64EEEvNS_9VariantIDEEUllE_EEvllT0_,"axG",@progbits,_ZN8rajaperf17lambda_hip_forallILm64EZNS_4apps13INTSC_HEXRECT17runHipVariantImplILm64EEEvNS_9VariantIDEEUllE_EEvllT0_,comdat
	.protected	_ZN8rajaperf17lambda_hip_forallILm64EZNS_4apps13INTSC_HEXRECT17runHipVariantImplILm64EEEvNS_9VariantIDEEUllE_EEvllT0_ ; -- Begin function _ZN8rajaperf17lambda_hip_forallILm64EZNS_4apps13INTSC_HEXRECT17runHipVariantImplILm64EEEvNS_9VariantIDEEUllE_EEvllT0_
	.globl	_ZN8rajaperf17lambda_hip_forallILm64EZNS_4apps13INTSC_HEXRECT17runHipVariantImplILm64EEEvNS_9VariantIDEEUllE_EEvllT0_
	.p2align	8
	.type	_ZN8rajaperf17lambda_hip_forallILm64EZNS_4apps13INTSC_HEXRECT17runHipVariantImplILm64EEEvNS_9VariantIDEEUllE_EEvllT0_,@function
_ZN8rajaperf17lambda_hip_forallILm64EZNS_4apps13INTSC_HEXRECT17runHipVariantImplILm64EEEvNS_9VariantIDEEUllE_EEvllT0_: ; @_ZN8rajaperf17lambda_hip_forallILm64EZNS_4apps13INTSC_HEXRECT17runHipVariantImplILm64EEEvNS_9VariantIDEEUllE_EEvllT0_
; %bb.0:
	s_load_dwordx4 s[12:15], s[4:5], 0x0
	s_add_u32 flat_scratch_lo, s6, s9
	s_addc_u32 flat_scratch_hi, s7, 0
	s_add_u32 s0, s0, s9
	s_mov_b32 s9, 0
	s_waitcnt lgkmcnt(0)
	v_mov_b32_e32 v1, s13
	v_add_co_u32_e32 v122, vcc, s12, v0
	s_addc_u32 s1, s1, 0
	s_lshl_b64 s[6:7], s[8:9], 6
	v_addc_co_u32_e32 v0, vcc, 0, v1, vcc
	v_mov_b32_e32 v1, s7
	v_add_co_u32_e32 v30, vcc, s6, v122
	v_addc_co_u32_e32 v31, vcc, v0, v1, vcc
	v_cmp_gt_i64_e32 vcc, s[14:15], v[30:31]
	s_and_saveexec_b64 s[6:7], vcc
	s_cbranch_execz .LBB1_615
; %bb.1:
	s_load_dwordx2 s[6:7], s[4:5], 0x10
	s_waitcnt lgkmcnt(0)
	v_cmp_gt_i64_e32 vcc, s[6:7], v[30:31]
	s_and_b64 exec, exec, vcc
	s_cbranch_execz .LBB1_615
; %bb.2:
	s_load_dwordx16 s[36:51], s[4:5], 0x18
	v_lshlrev_b64 v[4:5], 2, v[30:31]
	s_waitcnt lgkmcnt(0)
	v_mov_b32_e32 v1, s39
	v_add_co_u32_e32 v0, vcc, s38, v4
	v_addc_co_u32_e32 v1, vcc, v1, v5, vcc
	global_load_dword v0, v[0:1], off
	v_mov_b32_e32 v2, s41
	v_mov_b32_e32 v18, s43
	;; [unrolled: 1-line block ×25, first 2 shown]
	s_waitcnt vmcnt(0)
	v_lshlrev_b32_e32 v0, 3, v0
	v_ashrrev_i32_e32 v1, 31, v0
	v_lshlrev_b64 v[0:1], 2, v[0:1]
	v_add_co_u32_e32 v10, vcc, s40, v0
	v_addc_co_u32_e32 v11, vcc, v2, v1, vcc
	global_load_dwordx4 v[6:9], v[10:11], off
	global_load_dwordx4 v[0:3], v[10:11], off offset:16
	v_mov_b32_e32 v10, s51
	v_add_co_u32_e32 v4, vcc, s50, v4
	v_addc_co_u32_e32 v5, vcc, v10, v5, vcc
	global_load_dword v50, v[4:5], off
	s_waitcnt vmcnt(2)
	v_ashrrev_i32_e32 v5, 31, v6
	v_mov_b32_e32 v4, v6
	v_ashrrev_i32_e32 v11, 31, v7
	v_mov_b32_e32 v10, v7
	;; [unrolled: 2-line block ×4, first 2 shown]
	s_waitcnt vmcnt(1)
	v_ashrrev_i32_e32 v9, 31, v0
	v_mov_b32_e32 v8, v0
	v_ashrrev_i32_e32 v15, 31, v1
	v_mov_b32_e32 v14, v1
	;; [unrolled: 2-line block ×4, first 2 shown]
	v_lshlrev_b64 v[2:3], 3, v[4:5]
	v_lshlrev_b64 v[4:5], 3, v[10:11]
	v_lshlrev_b64 v[10:11], 3, v[12:13]
	v_lshlrev_b64 v[12:13], 3, v[14:15]
	v_lshlrev_b64 v[14:15], 3, v[16:17]
	v_add_co_u32_e32 v16, vcc, s42, v2
	v_addc_co_u32_e32 v17, vcc, v18, v3, vcc
	v_add_co_u32_e32 v18, vcc, s44, v2
	v_addc_co_u32_e32 v19, vcc, v19, v3, vcc
	v_add_co_u32_e32 v2, vcc, s46, v2
	v_addc_co_u32_e32 v3, vcc, v20, v3, vcc
	v_add_co_u32_e32 v20, vcc, s42, v4
	v_addc_co_u32_e32 v21, vcc, v21, v5, vcc
	v_add_co_u32_e32 v22, vcc, s44, v4
	v_addc_co_u32_e32 v23, vcc, v23, v5, vcc
	v_add_co_u32_e32 v4, vcc, s46, v4
	v_lshlrev_b64 v[6:7], 3, v[6:7]
	v_addc_co_u32_e32 v5, vcc, v24, v5, vcc
	v_add_co_u32_e32 v24, vcc, s42, v6
	v_addc_co_u32_e32 v25, vcc, v25, v7, vcc
	v_add_co_u32_e32 v26, vcc, s44, v6
	v_addc_co_u32_e32 v27, vcc, v27, v7, vcc
	v_add_co_u32_e32 v6, vcc, s46, v6
	v_addc_co_u32_e32 v7, vcc, v28, v7, vcc
	v_add_co_u32_e32 v28, vcc, s42, v10
	v_addc_co_u32_e32 v29, vcc, v29, v11, vcc
	v_add_co_u32_e32 v32, vcc, s44, v10
	v_addc_co_u32_e32 v33, vcc, v33, v11, vcc
	v_add_co_u32_e32 v10, vcc, s46, v10
	v_lshlrev_b64 v[8:9], 3, v[8:9]
	v_addc_co_u32_e32 v11, vcc, v34, v11, vcc
	;; [unrolled: 13-line block ×3, first 2 shown]
	global_load_dwordx2 v[80:81], v[16:17], off
	global_load_dwordx2 v[76:77], v[18:19], off
	;; [unrolled: 1-line block ×3, first 2 shown]
	v_add_co_u32_e32 v2, vcc, s42, v0
	v_addc_co_u32_e32 v3, vcc, v44, v1, vcc
	global_load_dwordx2 v[86:87], v[20:21], off
	global_load_dwordx2 v[82:83], v[22:23], off
	;; [unrolled: 1-line block ×4, first 2 shown]
	v_add_co_u32_e32 v4, vcc, s44, v0
	v_addc_co_u32_e32 v5, vcc, v45, v1, vcc
	v_add_co_u32_e32 v0, vcc, s46, v0
	v_addc_co_u32_e32 v1, vcc, v46, v1, vcc
	global_load_dwordx2 v[90:91], v[26:27], off
	global_load_dwordx2 v[84:85], v[6:7], off
	;; [unrolled: 1-line block ×4, first 2 shown]
	v_add_co_u32_e32 v6, vcc, s42, v14
	v_addc_co_u32_e32 v7, vcc, v47, v15, vcc
	global_load_dwordx2 v[94:95], v[10:11], off
	global_load_dwordx2 v[20:21], v[34:35], off
	;; [unrolled: 1-line block ×8, first 2 shown]
	v_add_co_u32_e32 v2, vcc, s44, v14
	v_addc_co_u32_e32 v3, vcc, v48, v15, vcc
	global_load_dwordx2 v[36:37], v[4:5], off
	global_load_dwordx2 v[26:27], v[0:1], off
	;; [unrolled: 1-line block ×4, first 2 shown]
	v_add_co_u32_e32 v0, vcc, s46, v14
	v_addc_co_u32_e32 v1, vcc, v49, v15, vcc
	global_load_dwordx2 v[40:41], v[0:1], off
	s_load_dwordx2 s[8:9], s[48:49], 0x4
	s_load_dwordx4 s[4:7], s[48:49], 0x10
	s_waitcnt vmcnt(24)
	v_sub_u32_e32 v2, 0, v50
	v_max_i32_e32 v2, v50, v2
	s_load_dwordx2 s[10:11], s[48:49], 0x20
	s_waitcnt lgkmcnt(0)
	s_mul_i32 s12, s9, s8
	s_abs_i32 s13, s12
	v_cvt_f32_u32_e32 v0, s13
	s_sub_i32 s14, 0, s13
	s_abs_i32 s8, s8
	v_mov_b32_e32 v10, s7
	v_rcp_iflag_f32_e32 v0, v0
	s_waitcnt vmcnt(23)
	buffer_store_dword v81, off, s[0:3], 0 offset:244
	buffer_store_dword v80, off, s[0:3], 0 offset:240
	s_waitcnt vmcnt(24)
	buffer_store_dword v77, off, s[0:3], 0 offset:308
	buffer_store_dword v76, off, s[0:3], 0 offset:304
	;; [unrolled: 3-line block ×24, first 2 shown]
	v_mul_f32_e32 v0, 0x4f7ffffe, v0
	v_cvt_u32_f32_e32 v0, v0
	v_mov_b32_e32 v44, 0x174d6123
	v_mov_b32_e32 v45, 0x2f52f8ac
	v_mul_lo_u32 v1, s14, v0
	v_mul_hi_u32 v1, v0, v1
	v_add_u32_e32 v0, v0, v1
	v_mul_hi_u32 v0, v2, v0
	v_mul_lo_u32 v3, v0, s13
	v_sub_u32_e32 v3, v2, v3
	v_xor_b32_e32 v1, s12, v50
	v_add_u32_e32 v4, 1, v0
	v_cmp_le_u32_e32 vcc, s13, v3
	s_abs_i32 s12, s9
	v_cndmask_b32_e32 v0, v0, v4, vcc
	v_cvt_f32_u32_e32 v4, s12
	v_subrev_u32_e32 v5, s13, v3
	v_cndmask_b32_e32 v3, v3, v5, vcc
	v_add_u32_e32 v5, 1, v0
	v_rcp_iflag_f32_e32 v6, v4
	v_cmp_le_u32_e32 vcc, s13, v3
	v_ashrrev_i32_e32 v1, 31, v1
	v_cndmask_b32_e32 v0, v0, v5, vcc
	v_xor_b32_e32 v0, v0, v1
	v_sub_u32_e32 v4, v0, v1
	v_mul_f32_e32 v0, 0x4f7ffffe, v6
	v_cvt_u32_f32_e32 v0, v0
	s_sub_i32 s13, 0, s12
	v_xor_b32_e32 v1, s9, v50
	v_ashrrev_i32_e32 v1, 31, v1
	v_mul_lo_u32 v3, s13, v0
	v_mul_hi_u32 v3, v0, v3
	v_add_u32_e32 v0, v0, v3
	v_mul_hi_u32 v0, v2, v0
	v_mul_lo_u32 v3, v0, s12
	v_sub_u32_e32 v2, v2, v3
	v_add_u32_e32 v3, 1, v0
	v_cmp_le_u32_e32 vcc, s12, v2
	v_cndmask_b32_e32 v0, v0, v3, vcc
	v_subrev_u32_e32 v3, s12, v2
	v_cndmask_b32_e32 v2, v2, v3, vcc
	v_cvt_f32_u32_e32 v3, s8
	v_cmp_le_u32_e32 vcc, s12, v2
	v_add_u32_e32 v5, 1, v0
	v_cndmask_b32_e32 v0, v0, v5, vcc
	v_rcp_iflag_f32_e32 v2, v3
	v_xor_b32_e32 v0, v0, v1
	s_sub_i32 s12, 0, s8
	v_sub_u32_e32 v0, v0, v1
	v_mul_f32_e32 v2, 0x4f7ffffe, v2
	v_cvt_u32_f32_e32 v2, v2
	v_sub_u32_e32 v3, 0, v0
	v_max_i32_e32 v3, v0, v3
	v_ashrrev_i32_e32 v1, 31, v0
	v_mul_lo_u32 v5, s12, v2
	v_mul_hi_u32 v5, v2, v5
	v_add_u32_e32 v2, v2, v5
	v_mul_hi_u32 v2, v3, v2
	v_mul_lo_u32 v2, v2, s8
	v_sub_u32_e32 v2, v3, v2
	v_subrev_u32_e32 v3, s8, v2
	v_cmp_le_u32_e32 vcc, s8, v2
	v_cndmask_b32_e32 v2, v2, v3, vcc
	v_subrev_u32_e32 v3, s8, v2
	v_cmp_le_u32_e32 vcc, s8, v2
	v_cndmask_b32_e32 v2, v2, v3, vcc
	v_mul_lo_u32 v0, v0, s9
	v_xor_b32_e32 v2, v2, v1
	v_sub_u32_e32 v0, v50, v0
	v_sub_u32_e32 v6, v2, v1
	v_ashrrev_i32_e32 v1, 31, v0
	v_lshlrev_b64 v[0:1], 3, v[0:1]
	v_mov_b32_e32 v2, s11
	v_add_co_u32_e32 v0, vcc, s10, v0
	v_ashrrev_i32_e32 v5, 31, v4
	v_addc_co_u32_e32 v1, vcc, v2, v1, vcc
	v_ashrrev_i32_e32 v7, 31, v6
	v_lshlrev_b64 v[4:5], 3, v[4:5]
	v_lshlrev_b64 v[8:9], 3, v[6:7]
	v_mov_b32_e32 v6, s5
	v_add_co_u32_e32 v4, vcc, s4, v4
	v_addc_co_u32_e32 v5, vcc, v6, v5, vcc
	v_add_co_u32_e32 v8, vcc, s6, v8
	v_addc_co_u32_e32 v9, vcc, v10, v9, vcc
	flat_load_dwordx4 v[0:3], v[0:1]
	v_mov_b32_e32 v50, 0
	flat_load_dwordx4 v[8:11], v[8:9]
	s_waitcnt vmcnt(0) lgkmcnt(0)
	v_add_f64 v[14:15], v[2:3], -v[0:1]
	flat_load_dwordx4 v[4:7], v[4:5]
	v_add_f64 v[10:11], v[10:11], -v[8:9]
	v_mul_f64 v[2:3], v[14:15], v[10:11]
	v_fmac_f64_e32 v[44:45], v[2:3], v[2:3]
	v_div_scale_f64 v[46:47], s[4:5], v[44:45], v[44:45], v[2:3]
	v_rcp_f64_e32 v[48:49], v[46:47]
	s_mov_b32 s4, 0
	s_mov_b32 s5, 0x3fd00000
	buffer_store_dword v50, off, s[0:3], 0 offset:8
	buffer_store_dword v50, off, s[0:3], 0 offset:4
	buffer_store_dword v50, off, s[0:3], 0
	s_waitcnt vmcnt(0) lgkmcnt(0)
	v_add_f64 v[32:33], v[6:7], -v[4:5]
	v_cmp_gt_f64_e32 vcc, v[6:7], v[4:5]
	v_fma_f64 v[6:7], -v[46:47], v[48:49], 1.0
	v_fmac_f64_e32 v[48:49], v[48:49], v[6:7]
	v_fma_f64 v[6:7], -v[46:47], v[48:49], 1.0
	v_cndmask_b32_e32 v35, 0, v33, vcc
	v_cndmask_b32_e32 v34, 0, v32, vcc
	v_fmac_f64_e32 v[48:49], v[48:49], v[6:7]
	v_div_scale_f64 v[6:7], vcc, v[2:3], v[44:45], v[2:3]
	v_mul_f64 v[32:33], v[6:7], v[48:49]
	v_fma_f64 v[6:7], -v[46:47], v[32:33], v[6:7]
	v_add_f64 v[56:57], v[74:75], -v[4:5]
	s_nop 0
	v_div_fmas_f64 v[6:7], v[6:7], v[48:49], v[32:33]
	v_div_fixup_f64 v[6:7], v[6:7], v[44:45], v[2:3]
	v_add_f64 v[44:45], v[80:81], v[88:89]
	v_add_f64 v[44:45], v[44:45], v[28:29]
	;; [unrolled: 1-line block ×3, first 2 shown]
	v_mul_f64 v[32:33], v[10:11], v[6:7]
	v_fma_f64 v[44:45], v[44:45], s[4:5], -v[0:1]
	v_mul_f64 v[72:73], v[44:45], v[32:33]
	v_add_f64 v[44:45], v[76:77], v[90:91]
	v_add_f64 v[44:45], v[44:45], v[36:37]
	;; [unrolled: 1-line block ×3, first 2 shown]
	v_mul_f64 v[6:7], v[14:15], v[6:7]
	v_fma_f64 v[44:45], v[44:45], s[4:5], -v[8:9]
	v_mul_f64 v[70:71], v[44:45], v[6:7]
	v_add_f64 v[44:45], v[74:75], v[84:85]
	v_add_f64 v[44:45], v[44:45], v[26:27]
	v_add_f64 v[44:45], v[12:13], v[44:45]
	v_fma_f64 v[62:63], v[44:45], s[4:5], -v[4:5]
	v_add_f64 v[44:45], v[80:81], -v[0:1]
	v_mul_f64 v[66:67], v[44:45], v[32:33]
	v_add_f64 v[44:45], v[88:89], -v[0:1]
	v_mul_f64 v[68:69], v[44:45], v[32:33]
	v_cmp_gt_f64_e64 s[6:7], 0, v[66:67]
	v_cmp_gt_f64_e64 s[10:11], 0, v[72:73]
	v_add_f64 v[44:45], v[76:77], -v[8:9]
	s_and_b64 s[4:5], s[6:7], s[10:11]
	v_cmp_gt_f64_e64 s[8:9], 0, v[68:69]
	v_mul_f64 v[60:61], v[44:45], v[6:7]
	v_add_f64 v[44:45], v[90:91], -v[8:9]
	s_and_b64 s[4:5], s[4:5], s[8:9]
	v_mul_f64 v[64:65], v[44:45], v[6:7]
	v_add_f64 v[58:59], v[84:85], -v[4:5]
	s_xor_b64 s[4:5], s[4:5], -1
	s_and_saveexec_b64 s[12:13], s[4:5]
	s_cbranch_execz .LBB1_12
; %bb.3:
	v_cmp_nle_f64_e32 vcc, 1.0, v[66:67]
	v_cmp_nle_f64_e64 s[4:5], 1.0, v[72:73]
	s_or_b64 s[4:5], vcc, s[4:5]
	v_cmp_nle_f64_e32 vcc, 1.0, v[68:69]
	s_or_b64 s[4:5], s[4:5], vcc
	s_and_b64 exec, exec, s[4:5]
	s_cbranch_execz .LBB1_12
; %bb.4:
	v_cmp_ngt_f64_e32 vcc, 0, v[60:61]
	v_cmp_ngt_f64_e64 s[4:5], 0, v[70:71]
	s_or_b64 s[4:5], vcc, s[4:5]
	v_cmp_ngt_f64_e32 vcc, 0, v[64:65]
	s_or_b64 s[4:5], s[4:5], vcc
	s_and_b64 exec, exec, s[4:5]
	s_cbranch_execz .LBB1_12
; %bb.5:
	v_cmp_nle_f64_e32 vcc, 1.0, v[60:61]
	v_cmp_nle_f64_e64 s[4:5], 1.0, v[70:71]
	s_or_b64 s[4:5], vcc, s[4:5]
	v_cmp_nle_f64_e32 vcc, 1.0, v[64:65]
	s_or_b64 s[4:5], s[4:5], vcc
	s_and_b64 exec, exec, s[4:5]
	s_cbranch_execz .LBB1_12
; %bb.6:
	v_cmp_ngt_f64_e32 vcc, 0, v[56:57]
	v_cmp_ngt_f64_e64 s[4:5], 0, v[62:63]
	s_or_b64 s[4:5], vcc, s[4:5]
	v_cmp_ngt_f64_e32 vcc, 0, v[58:59]
	s_or_b64 s[4:5], s[4:5], vcc
	s_and_b64 exec, exec, s[4:5]
	s_cbranch_execz .LBB1_12
; %bb.7:
	v_cmp_le_f64_e32 vcc, 0, v[66:67]
	v_cmp_le_f64_e64 s[4:5], 0, v[72:73]
	s_and_b64 s[4:5], vcc, s[4:5]
	v_cmp_le_f64_e32 vcc, 0, v[68:69]
	s_and_b64 s[4:5], s[4:5], vcc
	v_cmp_gt_f64_e32 vcc, 1.0, v[66:67]
	s_and_b64 s[4:5], vcc, s[4:5]
	v_cmp_gt_f64_e32 vcc, 1.0, v[72:73]
	s_and_b64 s[4:5], s[4:5], vcc
	v_cmp_gt_f64_e32 vcc, 1.0, v[68:69]
	s_and_b64 s[4:5], s[4:5], vcc
	v_cmp_le_f64_e32 vcc, 0, v[60:61]
	s_and_b64 s[4:5], vcc, s[4:5]
	v_cmp_le_f64_e32 vcc, 0, v[70:71]
	s_and_b64 s[4:5], s[4:5], vcc
	v_cmp_le_f64_e32 vcc, 0, v[64:65]
	s_and_b64 s[4:5], s[4:5], vcc
	v_cmp_gt_f64_e32 vcc, 1.0, v[60:61]
	s_and_b64 s[4:5], vcc, s[4:5]
	v_cmp_gt_f64_e32 vcc, 1.0, v[70:71]
	s_and_b64 s[4:5], s[4:5], vcc
	v_cmp_gt_f64_e32 vcc, 1.0, v[64:65]
	s_and_b64 s[4:5], s[4:5], vcc
	v_mov_b32_e32 v44, 8
	s_and_saveexec_b64 s[14:15], s[4:5]
	s_cbranch_execz .LBB1_11
; %bb.8:
	v_cmp_nge_f64_e32 vcc, v[56:57], v[34:35]
	v_cmp_nge_f64_e64 s[4:5], v[62:63], v[34:35]
	s_or_b64 s[4:5], vcc, s[4:5]
	v_cmp_nge_f64_e32 vcc, v[58:59], v[34:35]
	s_or_b64 s[4:5], s[4:5], vcc
	v_mov_b32_e32 v44, 4
	s_and_saveexec_b64 s[16:17], s[4:5]
	s_cbranch_execz .LBB1_10
; %bb.9:
	v_cmp_le_f64_e32 vcc, 0, v[56:57]
	v_cmp_le_f64_e64 s[4:5], 0, v[62:63]
	s_and_b64 s[4:5], vcc, s[4:5]
	v_cmp_le_f64_e32 vcc, 0, v[58:59]
	s_and_b64 s[4:5], s[4:5], vcc
	v_cmp_lt_f64_e32 vcc, v[56:57], v[34:35]
	s_and_b64 s[4:5], vcc, s[4:5]
	v_cmp_lt_f64_e32 vcc, v[62:63], v[34:35]
	s_and_b64 s[4:5], s[4:5], vcc
	v_cmp_lt_f64_e32 vcc, v[58:59], v[34:35]
	v_mov_b32_e32 v44, 0
	v_mov_b32_e32 v45, 8
	s_and_b64 vcc, s[4:5], vcc
	v_cndmask_b32_e32 v44, v45, v44, vcc
.LBB1_10:
	s_or_b64 exec, exec, s[16:17]
.LBB1_11:
	s_or_b64 exec, exec, s[14:15]
	buffer_load_dword v45, v44, s[0:3], 0 offen
	s_waitcnt vmcnt(0)
	v_or_b32_e32 v45, 1, v45
	buffer_store_dword v45, v44, s[0:3], 0 offen
.LBB1_12:
	s_or_b64 exec, exec, s[12:13]
	v_add_f64 v[44:45], v[28:29], -v[0:1]
	v_mul_f64 v[54:55], v[44:45], v[32:33]
	s_and_b64 s[12:13], s[8:9], s[10:11]
	v_cmp_gt_f64_e64 s[4:5], 0, v[54:55]
	v_add_f64 v[44:45], v[36:37], -v[8:9]
	s_and_b64 s[12:13], s[12:13], s[4:5]
	v_mul_f64 v[52:53], v[44:45], v[6:7]
	v_add_f64 v[50:51], v[26:27], -v[4:5]
	s_xor_b64 s[12:13], s[12:13], -1
	s_and_saveexec_b64 s[14:15], s[12:13]
	s_cbranch_execz .LBB1_22
; %bb.13:
	v_cmp_nle_f64_e32 vcc, 1.0, v[68:69]
	v_cmp_nle_f64_e64 s[12:13], 1.0, v[72:73]
	s_or_b64 s[12:13], vcc, s[12:13]
	v_cmp_nle_f64_e32 vcc, 1.0, v[54:55]
	s_or_b64 s[12:13], s[12:13], vcc
	s_and_b64 exec, exec, s[12:13]
	s_cbranch_execz .LBB1_22
; %bb.14:
	v_cmp_ngt_f64_e32 vcc, 0, v[64:65]
	v_cmp_ngt_f64_e64 s[12:13], 0, v[70:71]
	s_or_b64 s[12:13], vcc, s[12:13]
	v_cmp_ngt_f64_e32 vcc, 0, v[52:53]
	s_or_b64 s[12:13], s[12:13], vcc
	s_and_b64 exec, exec, s[12:13]
	s_cbranch_execz .LBB1_22
; %bb.15:
	v_cmp_nle_f64_e32 vcc, 1.0, v[64:65]
	v_cmp_nle_f64_e64 s[12:13], 1.0, v[70:71]
	s_or_b64 s[12:13], vcc, s[12:13]
	v_cmp_nle_f64_e32 vcc, 1.0, v[52:53]
	s_or_b64 s[12:13], s[12:13], vcc
	s_and_b64 exec, exec, s[12:13]
	s_cbranch_execz .LBB1_22
; %bb.16:
	v_cmp_ngt_f64_e32 vcc, 0, v[58:59]
	v_cmp_ngt_f64_e64 s[12:13], 0, v[62:63]
	s_or_b64 s[12:13], vcc, s[12:13]
	v_cmp_ngt_f64_e32 vcc, 0, v[50:51]
	s_or_b64 s[12:13], s[12:13], vcc
	s_and_b64 exec, exec, s[12:13]
	s_cbranch_execz .LBB1_22
; %bb.17:
	v_cmp_le_f64_e32 vcc, 0, v[68:69]
	v_cmp_le_f64_e64 s[12:13], 0, v[72:73]
	s_and_b64 s[12:13], vcc, s[12:13]
	v_cmp_le_f64_e32 vcc, 0, v[54:55]
	s_and_b64 s[12:13], s[12:13], vcc
	v_cmp_gt_f64_e32 vcc, 1.0, v[68:69]
	s_and_b64 s[12:13], vcc, s[12:13]
	v_cmp_gt_f64_e32 vcc, 1.0, v[72:73]
	s_and_b64 s[12:13], s[12:13], vcc
	v_cmp_gt_f64_e32 vcc, 1.0, v[54:55]
	s_and_b64 s[12:13], s[12:13], vcc
	v_cmp_le_f64_e32 vcc, 0, v[64:65]
	s_and_b64 s[12:13], vcc, s[12:13]
	v_cmp_le_f64_e32 vcc, 0, v[70:71]
	s_and_b64 s[12:13], s[12:13], vcc
	v_cmp_le_f64_e32 vcc, 0, v[52:53]
	s_and_b64 s[12:13], s[12:13], vcc
	v_cmp_gt_f64_e32 vcc, 1.0, v[64:65]
	s_and_b64 s[12:13], vcc, s[12:13]
	v_cmp_gt_f64_e32 vcc, 1.0, v[70:71]
	s_and_b64 s[12:13], s[12:13], vcc
	v_cmp_gt_f64_e32 vcc, 1.0, v[52:53]
	s_and_b64 s[12:13], s[12:13], vcc
	v_mov_b32_e32 v44, 8
	s_and_saveexec_b64 s[16:17], s[12:13]
	s_cbranch_execz .LBB1_21
; %bb.18:
	v_cmp_nge_f64_e32 vcc, v[58:59], v[34:35]
	v_cmp_nge_f64_e64 s[12:13], v[62:63], v[34:35]
	s_or_b64 s[12:13], vcc, s[12:13]
	v_cmp_nge_f64_e32 vcc, v[50:51], v[34:35]
	s_or_b64 s[12:13], s[12:13], vcc
	v_mov_b32_e32 v44, 4
	s_and_saveexec_b64 s[18:19], s[12:13]
	s_cbranch_execz .LBB1_20
; %bb.19:
	v_cmp_le_f64_e32 vcc, 0, v[58:59]
	v_cmp_le_f64_e64 s[12:13], 0, v[62:63]
	s_and_b64 s[12:13], vcc, s[12:13]
	v_cmp_le_f64_e32 vcc, 0, v[50:51]
	s_and_b64 s[12:13], s[12:13], vcc
	v_cmp_lt_f64_e32 vcc, v[58:59], v[34:35]
	s_and_b64 s[12:13], vcc, s[12:13]
	v_cmp_lt_f64_e32 vcc, v[62:63], v[34:35]
	s_and_b64 s[12:13], s[12:13], vcc
	v_cmp_lt_f64_e32 vcc, v[50:51], v[34:35]
	v_mov_b32_e32 v44, 0
	v_mov_b32_e32 v45, 8
	s_and_b64 vcc, s[12:13], vcc
	v_cndmask_b32_e32 v44, v45, v44, vcc
.LBB1_20:
	s_or_b64 exec, exec, s[18:19]
.LBB1_21:
	s_or_b64 exec, exec, s[16:17]
	buffer_load_dword v45, v44, s[0:3], 0 offen
	s_waitcnt vmcnt(0)
	v_or_b32_e32 v45, 2, v45
	buffer_store_dword v45, v44, s[0:3], 0 offen
.LBB1_22:
	s_or_b64 exec, exec, s[14:15]
	v_add_f64 v[44:45], v[20:21], -v[0:1]
	v_mul_f64 v[48:49], v[44:45], v[32:33]
	s_and_b64 s[12:13], s[4:5], s[10:11]
	v_cmp_gt_f64_e32 vcc, 0, v[48:49]
	v_add_f64 v[44:45], v[16:17], -v[8:9]
	s_and_b64 s[12:13], s[12:13], vcc
	v_mul_f64 v[46:47], v[44:45], v[6:7]
	v_add_f64 v[44:45], v[12:13], -v[4:5]
	s_xor_b64 s[12:13], s[12:13], -1
	s_and_saveexec_b64 s[16:17], s[12:13]
	s_cbranch_execz .LBB1_32
; %bb.23:
	v_cmp_nle_f64_e64 s[12:13], 1.0, v[54:55]
	v_cmp_nle_f64_e64 s[14:15], 1.0, v[72:73]
	s_or_b64 s[14:15], s[12:13], s[14:15]
	v_cmp_nle_f64_e64 s[12:13], 1.0, v[48:49]
	s_or_b64 s[12:13], s[14:15], s[12:13]
	s_and_b64 exec, exec, s[12:13]
	s_cbranch_execz .LBB1_32
; %bb.24:
	v_cmp_ngt_f64_e64 s[12:13], 0, v[52:53]
	v_cmp_ngt_f64_e64 s[14:15], 0, v[70:71]
	s_or_b64 s[14:15], s[12:13], s[14:15]
	v_cmp_ngt_f64_e64 s[12:13], 0, v[46:47]
	s_or_b64 s[12:13], s[14:15], s[12:13]
	s_and_b64 exec, exec, s[12:13]
	s_cbranch_execz .LBB1_32
; %bb.25:
	v_cmp_nle_f64_e64 s[12:13], 1.0, v[52:53]
	v_cmp_nle_f64_e64 s[14:15], 1.0, v[70:71]
	s_or_b64 s[14:15], s[12:13], s[14:15]
	v_cmp_nle_f64_e64 s[12:13], 1.0, v[46:47]
	s_or_b64 s[12:13], s[14:15], s[12:13]
	s_and_b64 exec, exec, s[12:13]
	s_cbranch_execz .LBB1_32
; %bb.26:
	v_cmp_ngt_f64_e64 s[12:13], 0, v[50:51]
	v_cmp_ngt_f64_e64 s[14:15], 0, v[62:63]
	s_or_b64 s[14:15], s[12:13], s[14:15]
	v_cmp_ngt_f64_e64 s[12:13], 0, v[44:45]
	s_or_b64 s[12:13], s[14:15], s[12:13]
	s_and_b64 exec, exec, s[12:13]
	s_cbranch_execz .LBB1_32
; %bb.27:
	v_cmp_le_f64_e64 s[12:13], 0, v[54:55]
	v_cmp_le_f64_e64 s[14:15], 0, v[72:73]
	s_and_b64 s[14:15], s[12:13], s[14:15]
	v_cmp_le_f64_e64 s[12:13], 0, v[48:49]
	s_and_b64 s[14:15], s[14:15], s[12:13]
	v_cmp_gt_f64_e64 s[12:13], 1.0, v[54:55]
	s_and_b64 s[14:15], s[12:13], s[14:15]
	v_cmp_gt_f64_e64 s[12:13], 1.0, v[72:73]
	;; [unrolled: 2-line block ×3, first 2 shown]
	s_and_b64 s[14:15], s[14:15], s[12:13]
	v_cmp_le_f64_e64 s[12:13], 0, v[52:53]
	s_and_b64 s[14:15], s[12:13], s[14:15]
	v_cmp_le_f64_e64 s[12:13], 0, v[70:71]
	;; [unrolled: 2-line block ×3, first 2 shown]
	s_and_b64 s[14:15], s[14:15], s[12:13]
	v_cmp_gt_f64_e64 s[12:13], 1.0, v[52:53]
	s_and_b64 s[14:15], s[12:13], s[14:15]
	v_cmp_gt_f64_e64 s[12:13], 1.0, v[70:71]
	;; [unrolled: 2-line block ×3, first 2 shown]
	s_and_b64 s[12:13], s[14:15], s[12:13]
	v_mov_b32_e32 v98, 8
	s_and_saveexec_b64 s[18:19], s[12:13]
	s_cbranch_execz .LBB1_31
; %bb.28:
	v_cmp_nge_f64_e64 s[12:13], v[50:51], v[34:35]
	v_cmp_nge_f64_e64 s[14:15], v[62:63], v[34:35]
	s_or_b64 s[14:15], s[12:13], s[14:15]
	v_cmp_nge_f64_e64 s[12:13], v[44:45], v[34:35]
	s_or_b64 s[12:13], s[14:15], s[12:13]
	v_mov_b32_e32 v98, 4
	s_and_saveexec_b64 s[20:21], s[12:13]
	s_cbranch_execz .LBB1_30
; %bb.29:
	v_cmp_le_f64_e64 s[12:13], 0, v[50:51]
	v_cmp_le_f64_e64 s[14:15], 0, v[62:63]
	s_and_b64 s[14:15], s[12:13], s[14:15]
	v_cmp_le_f64_e64 s[12:13], 0, v[44:45]
	s_and_b64 s[14:15], s[14:15], s[12:13]
	v_cmp_lt_f64_e64 s[12:13], v[50:51], v[34:35]
	s_and_b64 s[14:15], s[12:13], s[14:15]
	v_cmp_lt_f64_e64 s[12:13], v[62:63], v[34:35]
	;; [unrolled: 2-line block ×3, first 2 shown]
	v_mov_b32_e32 v98, 0
	v_mov_b32_e32 v99, 8
	s_and_b64 s[12:13], s[14:15], s[12:13]
	v_cndmask_b32_e64 v98, v99, v98, s[12:13]
.LBB1_30:
	s_or_b64 exec, exec, s[20:21]
.LBB1_31:
	s_or_b64 exec, exec, s[18:19]
	buffer_load_dword v99, v98, s[0:3], 0 offen
	s_waitcnt vmcnt(0)
	v_or_b32_e32 v99, 4, v99
	buffer_store_dword v99, v98, s[0:3], 0 offen
.LBB1_32:
	s_or_b64 exec, exec, s[16:17]
	s_and_b64 s[10:11], vcc, s[10:11]
	s_and_b64 s[10:11], s[6:7], s[10:11]
	s_xor_b64 s[10:11], s[10:11], -1
	s_and_saveexec_b64 s[14:15], s[10:11]
	s_cbranch_execz .LBB1_42
; %bb.33:
	v_cmp_nle_f64_e64 s[10:11], 1.0, v[48:49]
	v_cmp_nle_f64_e64 s[12:13], 1.0, v[72:73]
	s_or_b64 s[12:13], s[10:11], s[12:13]
	v_cmp_nle_f64_e64 s[10:11], 1.0, v[66:67]
	s_or_b64 s[10:11], s[10:11], s[12:13]
	s_and_b64 exec, exec, s[10:11]
	s_cbranch_execz .LBB1_42
; %bb.34:
	v_cmp_ngt_f64_e64 s[10:11], 0, v[46:47]
	v_cmp_ngt_f64_e64 s[12:13], 0, v[70:71]
	s_or_b64 s[12:13], s[10:11], s[12:13]
	v_cmp_ngt_f64_e64 s[10:11], 0, v[60:61]
	s_or_b64 s[10:11], s[12:13], s[10:11]
	s_and_b64 exec, exec, s[10:11]
	s_cbranch_execz .LBB1_42
; %bb.35:
	v_cmp_nle_f64_e64 s[10:11], 1.0, v[46:47]
	v_cmp_nle_f64_e64 s[12:13], 1.0, v[70:71]
	s_or_b64 s[12:13], s[10:11], s[12:13]
	v_cmp_nle_f64_e64 s[10:11], 1.0, v[60:61]
	s_or_b64 s[10:11], s[12:13], s[10:11]
	s_and_b64 exec, exec, s[10:11]
	s_cbranch_execz .LBB1_42
; %bb.36:
	v_cmp_ngt_f64_e64 s[10:11], 0, v[44:45]
	v_cmp_ngt_f64_e64 s[12:13], 0, v[62:63]
	s_or_b64 s[12:13], s[10:11], s[12:13]
	v_cmp_ngt_f64_e64 s[10:11], 0, v[56:57]
	s_or_b64 s[10:11], s[12:13], s[10:11]
	s_and_b64 exec, exec, s[10:11]
	s_cbranch_execz .LBB1_42
; %bb.37:
	v_cmp_le_f64_e64 s[10:11], 0, v[48:49]
	v_cmp_le_f64_e64 s[12:13], 0, v[72:73]
	s_and_b64 s[12:13], s[10:11], s[12:13]
	v_cmp_le_f64_e64 s[10:11], 0, v[66:67]
	s_and_b64 s[12:13], s[10:11], s[12:13]
	v_cmp_gt_f64_e64 s[10:11], 1.0, v[48:49]
	s_and_b64 s[12:13], s[10:11], s[12:13]
	v_cmp_gt_f64_e64 s[10:11], 1.0, v[72:73]
	s_and_b64 s[12:13], s[12:13], s[10:11]
	v_cmp_gt_f64_e64 s[10:11], 1.0, v[66:67]
	s_and_b64 s[12:13], s[10:11], s[12:13]
	v_cmp_le_f64_e64 s[10:11], 0, v[46:47]
	s_and_b64 s[12:13], s[10:11], s[12:13]
	v_cmp_le_f64_e64 s[10:11], 0, v[70:71]
	;; [unrolled: 2-line block ×3, first 2 shown]
	s_and_b64 s[12:13], s[12:13], s[10:11]
	v_cmp_gt_f64_e64 s[10:11], 1.0, v[46:47]
	s_and_b64 s[12:13], s[10:11], s[12:13]
	v_cmp_gt_f64_e64 s[10:11], 1.0, v[70:71]
	;; [unrolled: 2-line block ×3, first 2 shown]
	s_and_b64 s[10:11], s[12:13], s[10:11]
	v_mov_b32_e32 v70, 8
	s_and_saveexec_b64 s[16:17], s[10:11]
	s_cbranch_execz .LBB1_41
; %bb.38:
	v_cmp_nge_f64_e64 s[10:11], v[44:45], v[34:35]
	v_cmp_nge_f64_e64 s[12:13], v[62:63], v[34:35]
	s_or_b64 s[12:13], s[10:11], s[12:13]
	v_cmp_nge_f64_e64 s[10:11], v[56:57], v[34:35]
	s_or_b64 s[10:11], s[12:13], s[10:11]
	v_mov_b32_e32 v70, 4
	s_and_saveexec_b64 s[18:19], s[10:11]
	s_cbranch_execz .LBB1_40
; %bb.39:
	v_cmp_le_f64_e64 s[10:11], 0, v[44:45]
	v_cmp_le_f64_e64 s[12:13], 0, v[62:63]
	s_and_b64 s[12:13], s[10:11], s[12:13]
	v_cmp_le_f64_e64 s[10:11], 0, v[56:57]
	s_and_b64 s[12:13], s[12:13], s[10:11]
	v_cmp_lt_f64_e64 s[10:11], v[44:45], v[34:35]
	s_and_b64 s[12:13], s[10:11], s[12:13]
	v_cmp_lt_f64_e64 s[10:11], v[62:63], v[34:35]
	;; [unrolled: 2-line block ×3, first 2 shown]
	v_mov_b32_e32 v62, 0
	v_mov_b32_e32 v63, 8
	s_and_b64 s[10:11], s[12:13], s[10:11]
	v_cndmask_b32_e64 v70, v63, v62, s[10:11]
.LBB1_40:
	s_or_b64 exec, exec, s[18:19]
.LBB1_41:
	s_or_b64 exec, exec, s[16:17]
	buffer_load_dword v62, v70, s[0:3], 0 offen
	s_waitcnt vmcnt(0)
	v_or_b32_e32 v62, 8, v62
	buffer_store_dword v62, v70, s[0:3], 0 offen
.LBB1_42:
	s_or_b64 exec, exec, s[14:15]
	v_add_f64 v[62:63], v[86:87], v[24:25]
	v_add_f64 v[62:63], v[62:63], v[42:43]
	s_mov_b32 s10, 0
	v_add_f64 v[62:63], v[96:97], v[62:63]
	s_mov_b32 s11, 0x3fd00000
	v_fma_f64 v[62:63], v[62:63], s[10:11], -v[0:1]
	v_mul_f64 v[120:121], v[62:63], v[32:33]
	v_add_f64 v[62:63], v[82:83], v[22:23]
	v_add_f64 v[62:63], v[62:63], v[38:39]
	v_add_f64 v[62:63], v[92:93], v[62:63]
	v_fma_f64 v[62:63], v[62:63], s[10:11], -v[8:9]
	v_mul_f64 v[118:119], v[62:63], v[6:7]
	v_add_f64 v[62:63], v[78:79], v[18:19]
	v_add_f64 v[62:63], v[62:63], v[40:41]
	;; [unrolled: 1-line block ×3, first 2 shown]
	v_fma_f64 v[116:117], v[62:63], s[10:11], -v[4:5]
	v_add_f64 v[62:63], v[86:87], -v[0:1]
	v_mul_f64 v[108:109], v[62:63], v[32:33]
	v_add_f64 v[62:63], v[24:25], -v[0:1]
	v_mul_f64 v[72:73], v[62:63], v[32:33]
	v_cmp_gt_f64_e64 s[14:15], 0, v[108:109]
	v_cmp_gt_f64_e64 s[18:19], 0, v[120:121]
	v_add_f64 v[62:63], v[82:83], -v[8:9]
	s_and_b64 s[12:13], s[14:15], s[18:19]
	v_cmp_gt_f64_e64 s[10:11], 0, v[72:73]
	v_mul_f64 v[106:107], v[62:63], v[6:7]
	v_add_f64 v[62:63], v[22:23], -v[8:9]
	s_and_b64 s[12:13], s[12:13], s[10:11]
	v_mul_f64 v[70:71], v[62:63], v[6:7]
	v_add_f64 v[104:105], v[78:79], -v[4:5]
	v_add_f64 v[62:63], v[18:19], -v[4:5]
	s_xor_b64 s[12:13], s[12:13], -1
	s_and_saveexec_b64 s[20:21], s[12:13]
	s_cbranch_execz .LBB1_52
; %bb.43:
	v_cmp_nle_f64_e64 s[12:13], 1.0, v[108:109]
	v_cmp_nle_f64_e64 s[16:17], 1.0, v[120:121]
	s_or_b64 s[16:17], s[12:13], s[16:17]
	v_cmp_nle_f64_e64 s[12:13], 1.0, v[72:73]
	s_or_b64 s[12:13], s[16:17], s[12:13]
	s_and_b64 exec, exec, s[12:13]
	s_cbranch_execz .LBB1_52
; %bb.44:
	v_cmp_ngt_f64_e64 s[12:13], 0, v[106:107]
	v_cmp_ngt_f64_e64 s[16:17], 0, v[118:119]
	s_or_b64 s[16:17], s[12:13], s[16:17]
	v_cmp_ngt_f64_e64 s[12:13], 0, v[70:71]
	s_or_b64 s[12:13], s[16:17], s[12:13]
	s_and_b64 exec, exec, s[12:13]
	s_cbranch_execz .LBB1_52
; %bb.45:
	v_cmp_nle_f64_e64 s[12:13], 1.0, v[106:107]
	v_cmp_nle_f64_e64 s[16:17], 1.0, v[118:119]
	s_or_b64 s[16:17], s[12:13], s[16:17]
	v_cmp_nle_f64_e64 s[12:13], 1.0, v[70:71]
	s_or_b64 s[12:13], s[16:17], s[12:13]
	s_and_b64 exec, exec, s[12:13]
	s_cbranch_execz .LBB1_52
; %bb.46:
	v_cmp_ngt_f64_e64 s[12:13], 0, v[104:105]
	v_cmp_ngt_f64_e64 s[16:17], 0, v[116:117]
	s_or_b64 s[16:17], s[12:13], s[16:17]
	v_cmp_ngt_f64_e64 s[12:13], 0, v[62:63]
	s_or_b64 s[12:13], s[16:17], s[12:13]
	s_and_b64 exec, exec, s[12:13]
	s_cbranch_execz .LBB1_52
; %bb.47:
	v_cmp_le_f64_e64 s[12:13], 0, v[108:109]
	v_cmp_le_f64_e64 s[16:17], 0, v[120:121]
	s_and_b64 s[16:17], s[12:13], s[16:17]
	v_cmp_le_f64_e64 s[12:13], 0, v[72:73]
	s_and_b64 s[16:17], s[16:17], s[12:13]
	v_cmp_gt_f64_e64 s[12:13], 1.0, v[108:109]
	s_and_b64 s[16:17], s[12:13], s[16:17]
	v_cmp_gt_f64_e64 s[12:13], 1.0, v[120:121]
	s_and_b64 s[16:17], s[16:17], s[12:13]
	v_cmp_gt_f64_e64 s[12:13], 1.0, v[72:73]
	s_and_b64 s[16:17], s[16:17], s[12:13]
	v_cmp_le_f64_e64 s[12:13], 0, v[106:107]
	s_and_b64 s[16:17], s[12:13], s[16:17]
	v_cmp_le_f64_e64 s[12:13], 0, v[118:119]
	;; [unrolled: 2-line block ×3, first 2 shown]
	s_and_b64 s[16:17], s[16:17], s[12:13]
	v_cmp_gt_f64_e64 s[12:13], 1.0, v[106:107]
	s_and_b64 s[16:17], s[12:13], s[16:17]
	v_cmp_gt_f64_e64 s[12:13], 1.0, v[118:119]
	;; [unrolled: 2-line block ×3, first 2 shown]
	s_and_b64 s[12:13], s[16:17], s[12:13]
	v_mov_b32_e32 v98, 8
	s_and_saveexec_b64 s[22:23], s[12:13]
	s_cbranch_execz .LBB1_51
; %bb.48:
	v_cmp_nge_f64_e64 s[12:13], v[104:105], v[34:35]
	v_cmp_nge_f64_e64 s[16:17], v[116:117], v[34:35]
	s_or_b64 s[16:17], s[12:13], s[16:17]
	v_cmp_nge_f64_e64 s[12:13], v[62:63], v[34:35]
	s_or_b64 s[12:13], s[16:17], s[12:13]
	v_mov_b32_e32 v98, 4
	s_and_saveexec_b64 s[24:25], s[12:13]
	s_cbranch_execz .LBB1_50
; %bb.49:
	v_cmp_le_f64_e64 s[12:13], 0, v[104:105]
	v_cmp_le_f64_e64 s[16:17], 0, v[116:117]
	s_and_b64 s[16:17], s[12:13], s[16:17]
	v_cmp_le_f64_e64 s[12:13], 0, v[62:63]
	s_and_b64 s[16:17], s[16:17], s[12:13]
	v_cmp_lt_f64_e64 s[12:13], v[104:105], v[34:35]
	s_and_b64 s[16:17], s[12:13], s[16:17]
	v_cmp_lt_f64_e64 s[12:13], v[116:117], v[34:35]
	;; [unrolled: 2-line block ×3, first 2 shown]
	v_mov_b32_e32 v98, 0
	v_mov_b32_e32 v99, 8
	s_and_b64 s[12:13], s[16:17], s[12:13]
	v_cndmask_b32_e64 v98, v99, v98, s[12:13]
.LBB1_50:
	s_or_b64 exec, exec, s[24:25]
.LBB1_51:
	s_or_b64 exec, exec, s[22:23]
	buffer_load_dword v99, v98, s[0:3], 0 offen
	s_waitcnt vmcnt(0)
	v_or_b32_e32 v99, 16, v99
	buffer_store_dword v99, v98, s[0:3], 0 offen
.LBB1_52:
	s_or_b64 exec, exec, s[20:21]
	v_add_f64 v[98:99], v[42:43], -v[0:1]
	v_mul_f64 v[102:103], v[98:99], v[32:33]
	s_and_b64 s[16:17], s[10:11], s[18:19]
	v_cmp_gt_f64_e64 s[12:13], 0, v[102:103]
	v_add_f64 v[98:99], v[38:39], -v[8:9]
	s_and_b64 s[16:17], s[16:17], s[12:13]
	v_mul_f64 v[100:101], v[98:99], v[6:7]
	v_add_f64 v[98:99], v[40:41], -v[4:5]
	s_xor_b64 s[16:17], s[16:17], -1
	s_and_saveexec_b64 s[22:23], s[16:17]
	s_cbranch_execz .LBB1_62
; %bb.53:
	v_cmp_nle_f64_e64 s[16:17], 1.0, v[72:73]
	v_cmp_nle_f64_e64 s[20:21], 1.0, v[120:121]
	s_or_b64 s[20:21], s[16:17], s[20:21]
	v_cmp_nle_f64_e64 s[16:17], 1.0, v[102:103]
	s_or_b64 s[16:17], s[20:21], s[16:17]
	s_and_b64 exec, exec, s[16:17]
	s_cbranch_execz .LBB1_62
; %bb.54:
	v_cmp_ngt_f64_e64 s[16:17], 0, v[70:71]
	v_cmp_ngt_f64_e64 s[20:21], 0, v[118:119]
	s_or_b64 s[20:21], s[16:17], s[20:21]
	v_cmp_ngt_f64_e64 s[16:17], 0, v[100:101]
	s_or_b64 s[16:17], s[20:21], s[16:17]
	s_and_b64 exec, exec, s[16:17]
	s_cbranch_execz .LBB1_62
; %bb.55:
	v_cmp_nle_f64_e64 s[16:17], 1.0, v[70:71]
	v_cmp_nle_f64_e64 s[20:21], 1.0, v[118:119]
	s_or_b64 s[20:21], s[16:17], s[20:21]
	v_cmp_nle_f64_e64 s[16:17], 1.0, v[100:101]
	s_or_b64 s[16:17], s[20:21], s[16:17]
	s_and_b64 exec, exec, s[16:17]
	s_cbranch_execz .LBB1_62
; %bb.56:
	v_cmp_ngt_f64_e64 s[16:17], 0, v[62:63]
	v_cmp_ngt_f64_e64 s[20:21], 0, v[116:117]
	s_or_b64 s[20:21], s[16:17], s[20:21]
	v_cmp_ngt_f64_e64 s[16:17], 0, v[98:99]
	s_or_b64 s[16:17], s[20:21], s[16:17]
	s_and_b64 exec, exec, s[16:17]
	s_cbranch_execz .LBB1_62
; %bb.57:
	v_cmp_le_f64_e64 s[16:17], 0, v[72:73]
	v_cmp_le_f64_e64 s[20:21], 0, v[120:121]
	s_and_b64 s[20:21], s[16:17], s[20:21]
	v_cmp_le_f64_e64 s[16:17], 0, v[102:103]
	s_and_b64 s[20:21], s[20:21], s[16:17]
	v_cmp_gt_f64_e64 s[16:17], 1.0, v[72:73]
	s_and_b64 s[20:21], s[16:17], s[20:21]
	v_cmp_gt_f64_e64 s[16:17], 1.0, v[120:121]
	;; [unrolled: 2-line block ×3, first 2 shown]
	s_and_b64 s[20:21], s[20:21], s[16:17]
	v_cmp_le_f64_e64 s[16:17], 0, v[70:71]
	s_and_b64 s[20:21], s[16:17], s[20:21]
	v_cmp_le_f64_e64 s[16:17], 0, v[118:119]
	;; [unrolled: 2-line block ×3, first 2 shown]
	s_and_b64 s[20:21], s[20:21], s[16:17]
	v_cmp_gt_f64_e64 s[16:17], 1.0, v[70:71]
	s_and_b64 s[20:21], s[16:17], s[20:21]
	v_cmp_gt_f64_e64 s[16:17], 1.0, v[118:119]
	;; [unrolled: 2-line block ×3, first 2 shown]
	s_and_b64 s[16:17], s[20:21], s[16:17]
	v_mov_b32_e32 v110, 8
	s_and_saveexec_b64 s[24:25], s[16:17]
	s_cbranch_execz .LBB1_61
; %bb.58:
	v_cmp_nge_f64_e64 s[16:17], v[62:63], v[34:35]
	v_cmp_nge_f64_e64 s[20:21], v[116:117], v[34:35]
	s_or_b64 s[20:21], s[16:17], s[20:21]
	v_cmp_nge_f64_e64 s[16:17], v[98:99], v[34:35]
	s_or_b64 s[16:17], s[20:21], s[16:17]
	v_mov_b32_e32 v110, 4
	s_and_saveexec_b64 s[26:27], s[16:17]
	s_cbranch_execz .LBB1_60
; %bb.59:
	v_cmp_le_f64_e64 s[16:17], 0, v[62:63]
	v_cmp_le_f64_e64 s[20:21], 0, v[116:117]
	s_and_b64 s[20:21], s[16:17], s[20:21]
	v_cmp_le_f64_e64 s[16:17], 0, v[98:99]
	s_and_b64 s[20:21], s[20:21], s[16:17]
	v_cmp_lt_f64_e64 s[16:17], v[62:63], v[34:35]
	s_and_b64 s[20:21], s[16:17], s[20:21]
	v_cmp_lt_f64_e64 s[16:17], v[116:117], v[34:35]
	;; [unrolled: 2-line block ×3, first 2 shown]
	v_mov_b32_e32 v110, 0
	v_mov_b32_e32 v111, 8
	s_and_b64 s[16:17], s[20:21], s[16:17]
	v_cndmask_b32_e64 v110, v111, v110, s[16:17]
.LBB1_60:
	s_or_b64 exec, exec, s[26:27]
.LBB1_61:
	s_or_b64 exec, exec, s[24:25]
	buffer_load_dword v111, v110, s[0:3], 0 offen
	s_waitcnt vmcnt(0)
	v_or_b32_e32 v111, 32, v111
	buffer_store_dword v111, v110, s[0:3], 0 offen
.LBB1_62:
	s_or_b64 exec, exec, s[22:23]
	v_add_f64 v[110:111], v[96:97], -v[0:1]
	v_mul_f64 v[114:115], v[110:111], v[32:33]
	s_and_b64 s[20:21], s[12:13], s[18:19]
	v_cmp_gt_f64_e64 s[16:17], 0, v[114:115]
	v_add_f64 v[110:111], v[92:93], -v[8:9]
	s_and_b64 s[20:21], s[20:21], s[16:17]
	v_mul_f64 v[112:113], v[110:111], v[6:7]
	v_add_f64 v[110:111], v[94:95], -v[4:5]
	s_xor_b64 s[20:21], s[20:21], -1
	s_and_saveexec_b64 s[24:25], s[20:21]
	s_cbranch_execz .LBB1_72
; %bb.63:
	v_cmp_nle_f64_e64 s[20:21], 1.0, v[102:103]
	v_cmp_nle_f64_e64 s[22:23], 1.0, v[120:121]
	s_or_b64 s[22:23], s[20:21], s[22:23]
	v_cmp_nle_f64_e64 s[20:21], 1.0, v[114:115]
	s_or_b64 s[20:21], s[22:23], s[20:21]
	s_and_b64 exec, exec, s[20:21]
	s_cbranch_execz .LBB1_72
; %bb.64:
	v_cmp_ngt_f64_e64 s[20:21], 0, v[100:101]
	v_cmp_ngt_f64_e64 s[22:23], 0, v[118:119]
	s_or_b64 s[22:23], s[20:21], s[22:23]
	v_cmp_ngt_f64_e64 s[20:21], 0, v[112:113]
	s_or_b64 s[20:21], s[22:23], s[20:21]
	s_and_b64 exec, exec, s[20:21]
	s_cbranch_execz .LBB1_72
; %bb.65:
	v_cmp_nle_f64_e64 s[20:21], 1.0, v[100:101]
	v_cmp_nle_f64_e64 s[22:23], 1.0, v[118:119]
	s_or_b64 s[22:23], s[20:21], s[22:23]
	v_cmp_nle_f64_e64 s[20:21], 1.0, v[112:113]
	s_or_b64 s[20:21], s[22:23], s[20:21]
	s_and_b64 exec, exec, s[20:21]
	s_cbranch_execz .LBB1_72
; %bb.66:
	v_cmp_ngt_f64_e64 s[20:21], 0, v[98:99]
	v_cmp_ngt_f64_e64 s[22:23], 0, v[116:117]
	s_or_b64 s[22:23], s[20:21], s[22:23]
	v_cmp_ngt_f64_e64 s[20:21], 0, v[110:111]
	s_or_b64 s[20:21], s[22:23], s[20:21]
	s_and_b64 exec, exec, s[20:21]
	s_cbranch_execz .LBB1_72
; %bb.67:
	v_cmp_le_f64_e64 s[20:21], 0, v[102:103]
	v_cmp_le_f64_e64 s[22:23], 0, v[120:121]
	s_and_b64 s[22:23], s[20:21], s[22:23]
	v_cmp_le_f64_e64 s[20:21], 0, v[114:115]
	s_and_b64 s[22:23], s[22:23], s[20:21]
	v_cmp_gt_f64_e64 s[20:21], 1.0, v[102:103]
	s_and_b64 s[22:23], s[20:21], s[22:23]
	v_cmp_gt_f64_e64 s[20:21], 1.0, v[120:121]
	;; [unrolled: 2-line block ×3, first 2 shown]
	s_and_b64 s[22:23], s[22:23], s[20:21]
	v_cmp_le_f64_e64 s[20:21], 0, v[100:101]
	s_and_b64 s[22:23], s[20:21], s[22:23]
	v_cmp_le_f64_e64 s[20:21], 0, v[118:119]
	;; [unrolled: 2-line block ×3, first 2 shown]
	s_and_b64 s[22:23], s[22:23], s[20:21]
	v_cmp_gt_f64_e64 s[20:21], 1.0, v[100:101]
	s_and_b64 s[22:23], s[20:21], s[22:23]
	v_cmp_gt_f64_e64 s[20:21], 1.0, v[118:119]
	s_and_b64 s[22:23], s[22:23], s[20:21]
	v_cmp_gt_f64_e64 s[20:21], 1.0, v[112:113]
	s_and_b64 s[20:21], s[22:23], s[20:21]
	v_mov_b32_e32 v123, 8
	s_and_saveexec_b64 s[26:27], s[20:21]
	s_cbranch_execz .LBB1_71
; %bb.68:
	v_cmp_nge_f64_e64 s[20:21], v[98:99], v[34:35]
	v_cmp_nge_f64_e64 s[22:23], v[116:117], v[34:35]
	s_or_b64 s[22:23], s[20:21], s[22:23]
	v_cmp_nge_f64_e64 s[20:21], v[110:111], v[34:35]
	s_or_b64 s[20:21], s[22:23], s[20:21]
	v_mov_b32_e32 v123, 4
	s_and_saveexec_b64 s[28:29], s[20:21]
	s_cbranch_execz .LBB1_70
; %bb.69:
	v_cmp_le_f64_e64 s[20:21], 0, v[98:99]
	v_cmp_le_f64_e64 s[22:23], 0, v[116:117]
	s_and_b64 s[22:23], s[20:21], s[22:23]
	v_cmp_le_f64_e64 s[20:21], 0, v[110:111]
	s_and_b64 s[22:23], s[22:23], s[20:21]
	v_cmp_lt_f64_e64 s[20:21], v[98:99], v[34:35]
	s_and_b64 s[22:23], s[20:21], s[22:23]
	v_cmp_lt_f64_e64 s[20:21], v[116:117], v[34:35]
	;; [unrolled: 2-line block ×3, first 2 shown]
	v_mov_b32_e32 v123, 0
	v_mov_b32_e32 v124, 8
	s_and_b64 s[20:21], s[22:23], s[20:21]
	v_cndmask_b32_e64 v123, v124, v123, s[20:21]
.LBB1_70:
	s_or_b64 exec, exec, s[28:29]
.LBB1_71:
	s_or_b64 exec, exec, s[26:27]
	buffer_load_dword v124, v123, s[0:3], 0 offen
	s_waitcnt vmcnt(0)
	v_or_b32_e32 v124, 64, v124
	buffer_store_dword v124, v123, s[0:3], 0 offen
.LBB1_72:
	s_or_b64 exec, exec, s[24:25]
	s_and_b64 s[18:19], s[16:17], s[18:19]
	s_and_b64 s[18:19], s[14:15], s[18:19]
	s_xor_b64 s[18:19], s[18:19], -1
	s_and_saveexec_b64 s[22:23], s[18:19]
	s_cbranch_execz .LBB1_82
; %bb.73:
	v_cmp_nle_f64_e64 s[18:19], 1.0, v[114:115]
	v_cmp_nle_f64_e64 s[20:21], 1.0, v[120:121]
	s_or_b64 s[20:21], s[18:19], s[20:21]
	v_cmp_nle_f64_e64 s[18:19], 1.0, v[108:109]
	s_or_b64 s[18:19], s[18:19], s[20:21]
	s_and_b64 exec, exec, s[18:19]
	s_cbranch_execz .LBB1_82
; %bb.74:
	v_cmp_ngt_f64_e64 s[18:19], 0, v[112:113]
	v_cmp_ngt_f64_e64 s[20:21], 0, v[118:119]
	s_or_b64 s[20:21], s[18:19], s[20:21]
	v_cmp_ngt_f64_e64 s[18:19], 0, v[106:107]
	s_or_b64 s[18:19], s[20:21], s[18:19]
	s_and_b64 exec, exec, s[18:19]
	s_cbranch_execz .LBB1_82
; %bb.75:
	v_cmp_nle_f64_e64 s[18:19], 1.0, v[112:113]
	v_cmp_nle_f64_e64 s[20:21], 1.0, v[118:119]
	s_or_b64 s[20:21], s[18:19], s[20:21]
	v_cmp_nle_f64_e64 s[18:19], 1.0, v[106:107]
	s_or_b64 s[18:19], s[20:21], s[18:19]
	s_and_b64 exec, exec, s[18:19]
	s_cbranch_execz .LBB1_82
; %bb.76:
	v_cmp_ngt_f64_e64 s[18:19], 0, v[110:111]
	v_cmp_ngt_f64_e64 s[20:21], 0, v[116:117]
	s_or_b64 s[20:21], s[18:19], s[20:21]
	v_cmp_ngt_f64_e64 s[18:19], 0, v[104:105]
	s_or_b64 s[18:19], s[20:21], s[18:19]
	s_and_b64 exec, exec, s[18:19]
	s_cbranch_execz .LBB1_82
; %bb.77:
	v_cmp_le_f64_e64 s[18:19], 0, v[114:115]
	v_cmp_le_f64_e64 s[20:21], 0, v[120:121]
	s_and_b64 s[20:21], s[18:19], s[20:21]
	v_cmp_le_f64_e64 s[18:19], 0, v[108:109]
	s_and_b64 s[20:21], s[18:19], s[20:21]
	v_cmp_gt_f64_e64 s[18:19], 1.0, v[114:115]
	s_and_b64 s[20:21], s[18:19], s[20:21]
	v_cmp_gt_f64_e64 s[18:19], 1.0, v[120:121]
	;; [unrolled: 2-line block ×3, first 2 shown]
	s_and_b64 s[20:21], s[18:19], s[20:21]
	v_cmp_le_f64_e64 s[18:19], 0, v[112:113]
	s_and_b64 s[20:21], s[18:19], s[20:21]
	v_cmp_le_f64_e64 s[18:19], 0, v[118:119]
	s_and_b64 s[20:21], s[20:21], s[18:19]
	v_cmp_le_f64_e64 s[18:19], 0, v[106:107]
	s_and_b64 s[20:21], s[20:21], s[18:19]
	v_cmp_gt_f64_e64 s[18:19], 1.0, v[112:113]
	s_and_b64 s[20:21], s[18:19], s[20:21]
	v_cmp_gt_f64_e64 s[18:19], 1.0, v[118:119]
	;; [unrolled: 2-line block ×3, first 2 shown]
	s_and_b64 s[18:19], s[20:21], s[18:19]
	v_mov_b32_e32 v118, 8
	s_and_saveexec_b64 s[24:25], s[18:19]
	s_cbranch_execz .LBB1_81
; %bb.78:
	v_cmp_nge_f64_e64 s[18:19], v[110:111], v[34:35]
	v_cmp_nge_f64_e64 s[20:21], v[116:117], v[34:35]
	s_or_b64 s[20:21], s[18:19], s[20:21]
	v_cmp_nge_f64_e64 s[18:19], v[104:105], v[34:35]
	s_or_b64 s[18:19], s[20:21], s[18:19]
	v_mov_b32_e32 v118, 4
	s_and_saveexec_b64 s[26:27], s[18:19]
	s_cbranch_execz .LBB1_80
; %bb.79:
	v_cmp_le_f64_e64 s[18:19], 0, v[110:111]
	v_cmp_le_f64_e64 s[20:21], 0, v[116:117]
	s_and_b64 s[20:21], s[18:19], s[20:21]
	v_cmp_le_f64_e64 s[18:19], 0, v[104:105]
	s_and_b64 s[20:21], s[20:21], s[18:19]
	v_cmp_lt_f64_e64 s[18:19], v[110:111], v[34:35]
	s_and_b64 s[20:21], s[18:19], s[20:21]
	v_cmp_lt_f64_e64 s[18:19], v[116:117], v[34:35]
	;; [unrolled: 2-line block ×3, first 2 shown]
	v_mov_b32_e32 v116, 0
	v_mov_b32_e32 v117, 8
	s_and_b64 s[18:19], s[20:21], s[18:19]
	v_cndmask_b32_e64 v118, v117, v116, s[18:19]
.LBB1_80:
	s_or_b64 exec, exec, s[26:27]
.LBB1_81:
	s_or_b64 exec, exec, s[24:25]
	buffer_load_dword v116, v118, s[0:3], 0 offen
	s_waitcnt vmcnt(0)
	v_or_b32_e32 v116, 0x80, v116
	buffer_store_dword v116, v118, s[0:3], 0 offen
.LBB1_82:
	s_or_b64 exec, exec, s[22:23]
	v_add_f64 v[116:117], v[80:81], v[20:21]
	v_add_f64 v[116:117], v[116:117], v[24:25]
	s_mov_b32 s18, 0
	v_add_f64 v[116:117], v[86:87], v[116:117]
	s_mov_b32 s19, 0x3fd00000
	v_fma_f64 v[116:117], v[116:117], s[18:19], -v[0:1]
	v_mul_f64 v[120:121], v[116:117], v[32:33]
	v_add_f64 v[116:117], v[76:77], v[16:17]
	v_add_f64 v[116:117], v[116:117], v[22:23]
	;; [unrolled: 1-line block ×3, first 2 shown]
	v_fma_f64 v[116:117], v[116:117], s[18:19], -v[8:9]
	v_mul_f64 v[118:119], v[116:117], v[6:7]
	v_add_f64 v[116:117], v[74:75], v[12:13]
	v_add_f64 v[116:117], v[116:117], v[18:19]
	;; [unrolled: 1-line block ×3, first 2 shown]
	v_fma_f64 v[116:117], v[116:117], s[18:19], -v[4:5]
	v_cmp_gt_f64_e64 s[18:19], 0, v[120:121]
	s_and_b64 s[20:21], s[6:7], s[18:19]
	s_and_b64 s[20:21], s[20:21], vcc
	s_xor_b64 s[20:21], s[20:21], -1
	s_and_saveexec_b64 s[24:25], s[20:21]
	s_cbranch_execz .LBB1_92
; %bb.83:
	v_cmp_nle_f64_e64 s[20:21], 1.0, v[66:67]
	v_cmp_nle_f64_e64 s[22:23], 1.0, v[120:121]
	s_or_b64 s[22:23], s[20:21], s[22:23]
	v_cmp_nle_f64_e64 s[20:21], 1.0, v[48:49]
	s_or_b64 s[20:21], s[22:23], s[20:21]
	s_and_b64 exec, exec, s[20:21]
	s_cbranch_execz .LBB1_92
; %bb.84:
	v_cmp_ngt_f64_e64 s[20:21], 0, v[60:61]
	v_cmp_ngt_f64_e64 s[22:23], 0, v[118:119]
	s_or_b64 s[22:23], s[20:21], s[22:23]
	v_cmp_ngt_f64_e64 s[20:21], 0, v[46:47]
	s_or_b64 s[20:21], s[22:23], s[20:21]
	s_and_b64 exec, exec, s[20:21]
	s_cbranch_execz .LBB1_92
; %bb.85:
	v_cmp_nle_f64_e64 s[20:21], 1.0, v[60:61]
	v_cmp_nle_f64_e64 s[22:23], 1.0, v[118:119]
	s_or_b64 s[22:23], s[20:21], s[22:23]
	v_cmp_nle_f64_e64 s[20:21], 1.0, v[46:47]
	s_or_b64 s[20:21], s[22:23], s[20:21]
	s_and_b64 exec, exec, s[20:21]
	s_cbranch_execz .LBB1_92
; %bb.86:
	v_cmp_ngt_f64_e64 s[20:21], 0, v[56:57]
	v_cmp_ngt_f64_e64 s[22:23], 0, v[116:117]
	s_or_b64 s[22:23], s[20:21], s[22:23]
	v_cmp_ngt_f64_e64 s[20:21], 0, v[44:45]
	s_or_b64 s[20:21], s[22:23], s[20:21]
	s_and_b64 exec, exec, s[20:21]
	s_cbranch_execz .LBB1_92
; %bb.87:
	v_cmp_le_f64_e64 s[20:21], 0, v[66:67]
	v_cmp_le_f64_e64 s[22:23], 0, v[120:121]
	s_and_b64 s[22:23], s[20:21], s[22:23]
	v_cmp_le_f64_e64 s[20:21], 0, v[48:49]
	s_and_b64 s[22:23], s[22:23], s[20:21]
	v_cmp_gt_f64_e64 s[20:21], 1.0, v[66:67]
	s_and_b64 s[22:23], s[20:21], s[22:23]
	v_cmp_gt_f64_e64 s[20:21], 1.0, v[120:121]
	;; [unrolled: 2-line block ×3, first 2 shown]
	s_and_b64 s[22:23], s[22:23], s[20:21]
	v_cmp_le_f64_e64 s[20:21], 0, v[60:61]
	s_and_b64 s[22:23], s[20:21], s[22:23]
	v_cmp_le_f64_e64 s[20:21], 0, v[118:119]
	;; [unrolled: 2-line block ×3, first 2 shown]
	s_and_b64 s[22:23], s[22:23], s[20:21]
	v_cmp_gt_f64_e64 s[20:21], 1.0, v[60:61]
	s_and_b64 s[22:23], s[20:21], s[22:23]
	v_cmp_gt_f64_e64 s[20:21], 1.0, v[118:119]
	;; [unrolled: 2-line block ×3, first 2 shown]
	s_and_b64 s[20:21], s[22:23], s[20:21]
	v_mov_b32_e32 v123, 8
	s_and_saveexec_b64 s[26:27], s[20:21]
	s_cbranch_execz .LBB1_91
; %bb.88:
	v_cmp_nge_f64_e64 s[20:21], v[56:57], v[34:35]
	v_cmp_nge_f64_e64 s[22:23], v[116:117], v[34:35]
	s_or_b64 s[22:23], s[20:21], s[22:23]
	v_cmp_nge_f64_e64 s[20:21], v[44:45], v[34:35]
	s_or_b64 s[20:21], s[22:23], s[20:21]
	v_mov_b32_e32 v123, 4
	s_and_saveexec_b64 s[28:29], s[20:21]
	s_cbranch_execz .LBB1_90
; %bb.89:
	v_cmp_le_f64_e64 s[20:21], 0, v[56:57]
	v_cmp_le_f64_e64 s[22:23], 0, v[116:117]
	s_and_b64 s[22:23], s[20:21], s[22:23]
	v_cmp_le_f64_e64 s[20:21], 0, v[44:45]
	s_and_b64 s[22:23], s[22:23], s[20:21]
	v_cmp_lt_f64_e64 s[20:21], v[56:57], v[34:35]
	s_and_b64 s[22:23], s[20:21], s[22:23]
	v_cmp_lt_f64_e64 s[20:21], v[116:117], v[34:35]
	;; [unrolled: 2-line block ×3, first 2 shown]
	v_mov_b32_e32 v123, 0
	v_mov_b32_e32 v124, 8
	s_and_b64 s[20:21], s[22:23], s[20:21]
	v_cndmask_b32_e64 v123, v124, v123, s[20:21]
.LBB1_90:
	s_or_b64 exec, exec, s[28:29]
.LBB1_91:
	s_or_b64 exec, exec, s[26:27]
	buffer_load_dword v124, v123, s[0:3], 0 offen
	s_waitcnt vmcnt(0)
	v_or_b32_e32 v124, 0x100, v124
	buffer_store_dword v124, v123, s[0:3], 0 offen
.LBB1_92:
	s_or_b64 exec, exec, s[24:25]
	s_and_b64 s[20:21], vcc, s[18:19]
	s_and_b64 s[20:21], s[20:21], s[10:11]
	s_xor_b64 s[20:21], s[20:21], -1
	s_and_saveexec_b64 s[24:25], s[20:21]
	s_cbranch_execz .LBB1_102
; %bb.93:
	v_cmp_nle_f64_e64 s[20:21], 1.0, v[48:49]
	v_cmp_nle_f64_e64 s[22:23], 1.0, v[120:121]
	s_or_b64 s[22:23], s[20:21], s[22:23]
	v_cmp_nle_f64_e64 s[20:21], 1.0, v[72:73]
	s_or_b64 s[20:21], s[22:23], s[20:21]
	s_and_b64 exec, exec, s[20:21]
	s_cbranch_execz .LBB1_102
; %bb.94:
	v_cmp_ngt_f64_e64 s[20:21], 0, v[46:47]
	v_cmp_ngt_f64_e64 s[22:23], 0, v[118:119]
	s_or_b64 s[22:23], s[20:21], s[22:23]
	v_cmp_ngt_f64_e64 s[20:21], 0, v[70:71]
	s_or_b64 s[20:21], s[22:23], s[20:21]
	s_and_b64 exec, exec, s[20:21]
	s_cbranch_execz .LBB1_102
; %bb.95:
	v_cmp_nle_f64_e64 s[20:21], 1.0, v[46:47]
	v_cmp_nle_f64_e64 s[22:23], 1.0, v[118:119]
	s_or_b64 s[22:23], s[20:21], s[22:23]
	v_cmp_nle_f64_e64 s[20:21], 1.0, v[70:71]
	s_or_b64 s[20:21], s[22:23], s[20:21]
	s_and_b64 exec, exec, s[20:21]
	s_cbranch_execz .LBB1_102
; %bb.96:
	v_cmp_ngt_f64_e64 s[20:21], 0, v[44:45]
	v_cmp_ngt_f64_e64 s[22:23], 0, v[116:117]
	s_or_b64 s[22:23], s[20:21], s[22:23]
	v_cmp_ngt_f64_e64 s[20:21], 0, v[62:63]
	s_or_b64 s[20:21], s[22:23], s[20:21]
	s_and_b64 exec, exec, s[20:21]
	s_cbranch_execz .LBB1_102
; %bb.97:
	v_cmp_le_f64_e64 s[20:21], 0, v[48:49]
	v_cmp_le_f64_e64 s[22:23], 0, v[120:121]
	s_and_b64 s[22:23], s[20:21], s[22:23]
	v_cmp_le_f64_e64 s[20:21], 0, v[72:73]
	s_and_b64 s[22:23], s[22:23], s[20:21]
	v_cmp_gt_f64_e64 s[20:21], 1.0, v[48:49]
	s_and_b64 s[22:23], s[20:21], s[22:23]
	v_cmp_gt_f64_e64 s[20:21], 1.0, v[120:121]
	;; [unrolled: 2-line block ×3, first 2 shown]
	s_and_b64 s[22:23], s[22:23], s[20:21]
	v_cmp_le_f64_e64 s[20:21], 0, v[46:47]
	s_and_b64 s[22:23], s[20:21], s[22:23]
	v_cmp_le_f64_e64 s[20:21], 0, v[118:119]
	;; [unrolled: 2-line block ×3, first 2 shown]
	s_and_b64 s[22:23], s[22:23], s[20:21]
	v_cmp_gt_f64_e64 s[20:21], 1.0, v[46:47]
	s_and_b64 s[22:23], s[20:21], s[22:23]
	v_cmp_gt_f64_e64 s[20:21], 1.0, v[118:119]
	;; [unrolled: 2-line block ×3, first 2 shown]
	s_and_b64 s[20:21], s[22:23], s[20:21]
	v_mov_b32_e32 v123, 8
	s_and_saveexec_b64 s[26:27], s[20:21]
	s_cbranch_execz .LBB1_101
; %bb.98:
	v_cmp_nge_f64_e64 s[20:21], v[44:45], v[34:35]
	v_cmp_nge_f64_e64 s[22:23], v[116:117], v[34:35]
	s_or_b64 s[22:23], s[20:21], s[22:23]
	v_cmp_nge_f64_e64 s[20:21], v[62:63], v[34:35]
	s_or_b64 s[20:21], s[22:23], s[20:21]
	v_mov_b32_e32 v123, 4
	s_and_saveexec_b64 s[28:29], s[20:21]
	s_cbranch_execz .LBB1_100
; %bb.99:
	v_cmp_le_f64_e64 s[20:21], 0, v[44:45]
	v_cmp_le_f64_e64 s[22:23], 0, v[116:117]
	s_and_b64 s[22:23], s[20:21], s[22:23]
	v_cmp_le_f64_e64 s[20:21], 0, v[62:63]
	s_and_b64 s[22:23], s[22:23], s[20:21]
	v_cmp_lt_f64_e64 s[20:21], v[44:45], v[34:35]
	s_and_b64 s[22:23], s[20:21], s[22:23]
	v_cmp_lt_f64_e64 s[20:21], v[116:117], v[34:35]
	;; [unrolled: 2-line block ×3, first 2 shown]
	v_mov_b32_e32 v123, 0
	v_mov_b32_e32 v124, 8
	s_and_b64 s[20:21], s[22:23], s[20:21]
	v_cndmask_b32_e64 v123, v124, v123, s[20:21]
.LBB1_100:
	s_or_b64 exec, exec, s[28:29]
.LBB1_101:
	s_or_b64 exec, exec, s[26:27]
	buffer_load_dword v124, v123, s[0:3], 0 offen
	s_waitcnt vmcnt(0)
	v_or_b32_e32 v124, 0x200, v124
	buffer_store_dword v124, v123, s[0:3], 0 offen
.LBB1_102:
	s_or_b64 exec, exec, s[24:25]
	s_and_b64 s[20:21], s[10:11], s[18:19]
	s_and_b64 s[20:21], s[14:15], s[20:21]
	s_xor_b64 s[20:21], s[20:21], -1
	s_and_saveexec_b64 s[24:25], s[20:21]
	s_cbranch_execz .LBB1_112
; %bb.103:
	v_cmp_nle_f64_e64 s[20:21], 1.0, v[72:73]
	v_cmp_nle_f64_e64 s[22:23], 1.0, v[120:121]
	s_or_b64 s[22:23], s[20:21], s[22:23]
	v_cmp_nle_f64_e64 s[20:21], 1.0, v[108:109]
	s_or_b64 s[20:21], s[20:21], s[22:23]
	s_and_b64 exec, exec, s[20:21]
	s_cbranch_execz .LBB1_112
; %bb.104:
	v_cmp_ngt_f64_e64 s[20:21], 0, v[70:71]
	v_cmp_ngt_f64_e64 s[22:23], 0, v[118:119]
	s_or_b64 s[22:23], s[20:21], s[22:23]
	v_cmp_ngt_f64_e64 s[20:21], 0, v[106:107]
	s_or_b64 s[20:21], s[22:23], s[20:21]
	s_and_b64 exec, exec, s[20:21]
	s_cbranch_execz .LBB1_112
; %bb.105:
	v_cmp_nle_f64_e64 s[20:21], 1.0, v[70:71]
	v_cmp_nle_f64_e64 s[22:23], 1.0, v[118:119]
	s_or_b64 s[22:23], s[20:21], s[22:23]
	v_cmp_nle_f64_e64 s[20:21], 1.0, v[106:107]
	s_or_b64 s[20:21], s[22:23], s[20:21]
	s_and_b64 exec, exec, s[20:21]
	s_cbranch_execz .LBB1_112
; %bb.106:
	v_cmp_ngt_f64_e64 s[20:21], 0, v[62:63]
	v_cmp_ngt_f64_e64 s[22:23], 0, v[116:117]
	s_or_b64 s[22:23], s[20:21], s[22:23]
	v_cmp_ngt_f64_e64 s[20:21], 0, v[104:105]
	s_or_b64 s[20:21], s[22:23], s[20:21]
	s_and_b64 exec, exec, s[20:21]
	s_cbranch_execz .LBB1_112
; %bb.107:
	v_cmp_le_f64_e64 s[20:21], 0, v[72:73]
	v_cmp_le_f64_e64 s[22:23], 0, v[120:121]
	s_and_b64 s[22:23], s[20:21], s[22:23]
	v_cmp_le_f64_e64 s[20:21], 0, v[108:109]
	s_and_b64 s[22:23], s[20:21], s[22:23]
	v_cmp_gt_f64_e64 s[20:21], 1.0, v[72:73]
	s_and_b64 s[22:23], s[20:21], s[22:23]
	v_cmp_gt_f64_e64 s[20:21], 1.0, v[120:121]
	;; [unrolled: 2-line block ×3, first 2 shown]
	s_and_b64 s[22:23], s[20:21], s[22:23]
	v_cmp_le_f64_e64 s[20:21], 0, v[70:71]
	s_and_b64 s[22:23], s[20:21], s[22:23]
	v_cmp_le_f64_e64 s[20:21], 0, v[118:119]
	s_and_b64 s[22:23], s[22:23], s[20:21]
	v_cmp_le_f64_e64 s[20:21], 0, v[106:107]
	s_and_b64 s[22:23], s[22:23], s[20:21]
	v_cmp_gt_f64_e64 s[20:21], 1.0, v[70:71]
	s_and_b64 s[22:23], s[20:21], s[22:23]
	v_cmp_gt_f64_e64 s[20:21], 1.0, v[118:119]
	s_and_b64 s[22:23], s[22:23], s[20:21]
	v_cmp_gt_f64_e64 s[20:21], 1.0, v[106:107]
	s_and_b64 s[20:21], s[22:23], s[20:21]
	v_mov_b32_e32 v123, 8
	s_and_saveexec_b64 s[26:27], s[20:21]
	s_cbranch_execz .LBB1_111
; %bb.108:
	v_cmp_nge_f64_e64 s[20:21], v[62:63], v[34:35]
	v_cmp_nge_f64_e64 s[22:23], v[116:117], v[34:35]
	s_or_b64 s[22:23], s[20:21], s[22:23]
	v_cmp_nge_f64_e64 s[20:21], v[104:105], v[34:35]
	s_or_b64 s[20:21], s[22:23], s[20:21]
	v_mov_b32_e32 v123, 4
	s_and_saveexec_b64 s[28:29], s[20:21]
	s_cbranch_execz .LBB1_110
; %bb.109:
	v_cmp_le_f64_e64 s[20:21], 0, v[62:63]
	v_cmp_le_f64_e64 s[22:23], 0, v[116:117]
	s_and_b64 s[22:23], s[20:21], s[22:23]
	v_cmp_le_f64_e64 s[20:21], 0, v[104:105]
	s_and_b64 s[22:23], s[22:23], s[20:21]
	v_cmp_lt_f64_e64 s[20:21], v[62:63], v[34:35]
	s_and_b64 s[22:23], s[20:21], s[22:23]
	v_cmp_lt_f64_e64 s[20:21], v[116:117], v[34:35]
	;; [unrolled: 2-line block ×3, first 2 shown]
	v_mov_b32_e32 v123, 0
	v_mov_b32_e32 v124, 8
	s_and_b64 s[20:21], s[22:23], s[20:21]
	v_cndmask_b32_e64 v123, v124, v123, s[20:21]
.LBB1_110:
	s_or_b64 exec, exec, s[28:29]
.LBB1_111:
	s_or_b64 exec, exec, s[26:27]
	buffer_load_dword v124, v123, s[0:3], 0 offen
	s_waitcnt vmcnt(0)
	v_or_b32_e32 v124, 0x400, v124
	buffer_store_dword v124, v123, s[0:3], 0 offen
.LBB1_112:
	s_or_b64 exec, exec, s[24:25]
	s_and_b64 s[18:19], s[14:15], s[18:19]
	s_and_b64 s[18:19], s[6:7], s[18:19]
	s_xor_b64 s[18:19], s[18:19], -1
	s_and_saveexec_b64 s[22:23], s[18:19]
	s_cbranch_execz .LBB1_122
; %bb.113:
	v_cmp_nle_f64_e64 s[18:19], 1.0, v[108:109]
	v_cmp_nle_f64_e64 s[20:21], 1.0, v[120:121]
	s_or_b64 s[20:21], s[18:19], s[20:21]
	v_cmp_nle_f64_e64 s[18:19], 1.0, v[66:67]
	s_or_b64 s[18:19], s[18:19], s[20:21]
	s_and_b64 exec, exec, s[18:19]
	s_cbranch_execz .LBB1_122
; %bb.114:
	v_cmp_ngt_f64_e64 s[18:19], 0, v[106:107]
	v_cmp_ngt_f64_e64 s[20:21], 0, v[118:119]
	s_or_b64 s[20:21], s[18:19], s[20:21]
	v_cmp_ngt_f64_e64 s[18:19], 0, v[60:61]
	s_or_b64 s[18:19], s[20:21], s[18:19]
	s_and_b64 exec, exec, s[18:19]
	s_cbranch_execz .LBB1_122
; %bb.115:
	v_cmp_nle_f64_e64 s[18:19], 1.0, v[106:107]
	v_cmp_nle_f64_e64 s[20:21], 1.0, v[118:119]
	s_or_b64 s[20:21], s[18:19], s[20:21]
	v_cmp_nle_f64_e64 s[18:19], 1.0, v[60:61]
	s_or_b64 s[18:19], s[20:21], s[18:19]
	s_and_b64 exec, exec, s[18:19]
	s_cbranch_execz .LBB1_122
; %bb.116:
	v_cmp_ngt_f64_e64 s[18:19], 0, v[104:105]
	v_cmp_ngt_f64_e64 s[20:21], 0, v[116:117]
	s_or_b64 s[20:21], s[18:19], s[20:21]
	v_cmp_ngt_f64_e64 s[18:19], 0, v[56:57]
	s_or_b64 s[18:19], s[20:21], s[18:19]
	s_and_b64 exec, exec, s[18:19]
	s_cbranch_execz .LBB1_122
; %bb.117:
	v_cmp_le_f64_e64 s[18:19], 0, v[108:109]
	v_cmp_le_f64_e64 s[20:21], 0, v[120:121]
	s_and_b64 s[20:21], s[18:19], s[20:21]
	v_cmp_le_f64_e64 s[18:19], 0, v[66:67]
	s_and_b64 s[20:21], s[18:19], s[20:21]
	v_cmp_gt_f64_e64 s[18:19], 1.0, v[108:109]
	s_and_b64 s[20:21], s[18:19], s[20:21]
	v_cmp_gt_f64_e64 s[18:19], 1.0, v[120:121]
	;; [unrolled: 2-line block ×3, first 2 shown]
	s_and_b64 s[20:21], s[18:19], s[20:21]
	v_cmp_le_f64_e64 s[18:19], 0, v[106:107]
	s_and_b64 s[20:21], s[18:19], s[20:21]
	v_cmp_le_f64_e64 s[18:19], 0, v[118:119]
	s_and_b64 s[20:21], s[20:21], s[18:19]
	v_cmp_le_f64_e64 s[18:19], 0, v[60:61]
	s_and_b64 s[20:21], s[20:21], s[18:19]
	v_cmp_gt_f64_e64 s[18:19], 1.0, v[106:107]
	s_and_b64 s[20:21], s[18:19], s[20:21]
	v_cmp_gt_f64_e64 s[18:19], 1.0, v[118:119]
	;; [unrolled: 2-line block ×3, first 2 shown]
	s_and_b64 s[18:19], s[20:21], s[18:19]
	v_mov_b32_e32 v118, 8
	s_and_saveexec_b64 s[24:25], s[18:19]
	s_cbranch_execz .LBB1_121
; %bb.118:
	v_cmp_nge_f64_e64 s[18:19], v[104:105], v[34:35]
	v_cmp_nge_f64_e64 s[20:21], v[116:117], v[34:35]
	s_or_b64 s[20:21], s[18:19], s[20:21]
	v_cmp_nge_f64_e64 s[18:19], v[56:57], v[34:35]
	s_or_b64 s[18:19], s[20:21], s[18:19]
	v_mov_b32_e32 v118, 4
	s_and_saveexec_b64 s[26:27], s[18:19]
	s_cbranch_execz .LBB1_120
; %bb.119:
	v_cmp_le_f64_e64 s[18:19], 0, v[104:105]
	v_cmp_le_f64_e64 s[20:21], 0, v[116:117]
	s_and_b64 s[20:21], s[18:19], s[20:21]
	v_cmp_le_f64_e64 s[18:19], 0, v[56:57]
	s_and_b64 s[20:21], s[20:21], s[18:19]
	v_cmp_lt_f64_e64 s[18:19], v[104:105], v[34:35]
	s_and_b64 s[20:21], s[18:19], s[20:21]
	v_cmp_lt_f64_e64 s[18:19], v[116:117], v[34:35]
	s_and_b64 s[20:21], s[20:21], s[18:19]
	v_cmp_lt_f64_e64 s[18:19], v[56:57], v[34:35]
	v_mov_b32_e32 v116, 0
	v_mov_b32_e32 v117, 8
	s_and_b64 s[18:19], s[20:21], s[18:19]
	v_cndmask_b32_e64 v118, v117, v116, s[18:19]
.LBB1_120:
	s_or_b64 exec, exec, s[26:27]
.LBB1_121:
	s_or_b64 exec, exec, s[24:25]
	buffer_load_dword v116, v118, s[0:3], 0 offen
	s_waitcnt vmcnt(0)
	v_or_b32_e32 v116, 0x800, v116
	buffer_store_dword v116, v118, s[0:3], 0 offen
.LBB1_122:
	s_or_b64 exec, exec, s[22:23]
	v_add_f64 v[116:117], v[88:89], v[96:97]
	v_add_f64 v[116:117], v[116:117], v[42:43]
	s_mov_b32 s18, 0
	v_add_f64 v[116:117], v[28:29], v[116:117]
	s_mov_b32 s19, 0x3fd00000
	v_fma_f64 v[116:117], v[116:117], s[18:19], -v[0:1]
	v_mul_f64 v[120:121], v[116:117], v[32:33]
	v_add_f64 v[116:117], v[90:91], v[92:93]
	v_add_f64 v[116:117], v[116:117], v[38:39]
	;; [unrolled: 1-line block ×3, first 2 shown]
	v_fma_f64 v[116:117], v[116:117], s[18:19], -v[8:9]
	v_mul_f64 v[118:119], v[116:117], v[6:7]
	v_add_f64 v[116:117], v[84:85], v[94:95]
	v_add_f64 v[116:117], v[116:117], v[40:41]
	;; [unrolled: 1-line block ×3, first 2 shown]
	v_fma_f64 v[116:117], v[116:117], s[18:19], -v[4:5]
	v_cmp_gt_f64_e64 s[18:19], 0, v[120:121]
	s_and_b64 s[20:21], s[8:9], s[18:19]
	s_and_b64 s[20:21], s[20:21], s[16:17]
	s_xor_b64 s[20:21], s[20:21], -1
	s_and_saveexec_b64 s[24:25], s[20:21]
	s_cbranch_execz .LBB1_132
; %bb.123:
	v_cmp_nle_f64_e64 s[20:21], 1.0, v[68:69]
	v_cmp_nle_f64_e64 s[22:23], 1.0, v[120:121]
	s_or_b64 s[22:23], s[20:21], s[22:23]
	v_cmp_nle_f64_e64 s[20:21], 1.0, v[114:115]
	s_or_b64 s[20:21], s[22:23], s[20:21]
	s_and_b64 exec, exec, s[20:21]
	s_cbranch_execz .LBB1_132
; %bb.124:
	v_cmp_ngt_f64_e64 s[20:21], 0, v[64:65]
	v_cmp_ngt_f64_e64 s[22:23], 0, v[118:119]
	s_or_b64 s[22:23], s[20:21], s[22:23]
	v_cmp_ngt_f64_e64 s[20:21], 0, v[112:113]
	s_or_b64 s[20:21], s[22:23], s[20:21]
	s_and_b64 exec, exec, s[20:21]
	s_cbranch_execz .LBB1_132
; %bb.125:
	v_cmp_nle_f64_e64 s[20:21], 1.0, v[64:65]
	v_cmp_nle_f64_e64 s[22:23], 1.0, v[118:119]
	s_or_b64 s[22:23], s[20:21], s[22:23]
	v_cmp_nle_f64_e64 s[20:21], 1.0, v[112:113]
	s_or_b64 s[20:21], s[22:23], s[20:21]
	s_and_b64 exec, exec, s[20:21]
	s_cbranch_execz .LBB1_132
; %bb.126:
	v_cmp_ngt_f64_e64 s[20:21], 0, v[58:59]
	v_cmp_ngt_f64_e64 s[22:23], 0, v[116:117]
	s_or_b64 s[22:23], s[20:21], s[22:23]
	v_cmp_ngt_f64_e64 s[20:21], 0, v[110:111]
	s_or_b64 s[20:21], s[22:23], s[20:21]
	s_and_b64 exec, exec, s[20:21]
	s_cbranch_execz .LBB1_132
; %bb.127:
	v_cmp_le_f64_e64 s[20:21], 0, v[68:69]
	v_cmp_le_f64_e64 s[22:23], 0, v[120:121]
	s_and_b64 s[22:23], s[20:21], s[22:23]
	v_cmp_le_f64_e64 s[20:21], 0, v[114:115]
	s_and_b64 s[22:23], s[22:23], s[20:21]
	v_cmp_gt_f64_e64 s[20:21], 1.0, v[68:69]
	s_and_b64 s[22:23], s[20:21], s[22:23]
	v_cmp_gt_f64_e64 s[20:21], 1.0, v[120:121]
	;; [unrolled: 2-line block ×3, first 2 shown]
	s_and_b64 s[22:23], s[22:23], s[20:21]
	v_cmp_le_f64_e64 s[20:21], 0, v[64:65]
	s_and_b64 s[22:23], s[20:21], s[22:23]
	v_cmp_le_f64_e64 s[20:21], 0, v[118:119]
	;; [unrolled: 2-line block ×3, first 2 shown]
	s_and_b64 s[22:23], s[22:23], s[20:21]
	v_cmp_gt_f64_e64 s[20:21], 1.0, v[64:65]
	s_and_b64 s[22:23], s[20:21], s[22:23]
	v_cmp_gt_f64_e64 s[20:21], 1.0, v[118:119]
	;; [unrolled: 2-line block ×3, first 2 shown]
	s_and_b64 s[20:21], s[22:23], s[20:21]
	v_mov_b32_e32 v123, 8
	s_and_saveexec_b64 s[26:27], s[20:21]
	s_cbranch_execz .LBB1_131
; %bb.128:
	v_cmp_nge_f64_e64 s[20:21], v[58:59], v[34:35]
	v_cmp_nge_f64_e64 s[22:23], v[116:117], v[34:35]
	s_or_b64 s[22:23], s[20:21], s[22:23]
	v_cmp_nge_f64_e64 s[20:21], v[110:111], v[34:35]
	s_or_b64 s[20:21], s[22:23], s[20:21]
	v_mov_b32_e32 v123, 4
	s_and_saveexec_b64 s[28:29], s[20:21]
	s_cbranch_execz .LBB1_130
; %bb.129:
	v_cmp_le_f64_e64 s[20:21], 0, v[58:59]
	v_cmp_le_f64_e64 s[22:23], 0, v[116:117]
	s_and_b64 s[22:23], s[20:21], s[22:23]
	v_cmp_le_f64_e64 s[20:21], 0, v[110:111]
	s_and_b64 s[22:23], s[22:23], s[20:21]
	v_cmp_lt_f64_e64 s[20:21], v[58:59], v[34:35]
	s_and_b64 s[22:23], s[20:21], s[22:23]
	v_cmp_lt_f64_e64 s[20:21], v[116:117], v[34:35]
	;; [unrolled: 2-line block ×3, first 2 shown]
	v_mov_b32_e32 v123, 0
	v_mov_b32_e32 v124, 8
	s_and_b64 s[20:21], s[22:23], s[20:21]
	v_cndmask_b32_e64 v123, v124, v123, s[20:21]
.LBB1_130:
	s_or_b64 exec, exec, s[28:29]
.LBB1_131:
	s_or_b64 exec, exec, s[26:27]
	buffer_load_dword v124, v123, s[0:3], 0 offen
	s_waitcnt vmcnt(0)
	v_or_b32_e32 v124, 0x1000, v124
	buffer_store_dword v124, v123, s[0:3], 0 offen
.LBB1_132:
	s_or_b64 exec, exec, s[24:25]
	s_and_b64 s[20:21], s[16:17], s[18:19]
	s_and_b64 s[20:21], s[20:21], s[12:13]
	s_xor_b64 s[20:21], s[20:21], -1
	s_and_saveexec_b64 s[24:25], s[20:21]
	s_cbranch_execz .LBB1_142
; %bb.133:
	v_cmp_nle_f64_e64 s[20:21], 1.0, v[114:115]
	v_cmp_nle_f64_e64 s[22:23], 1.0, v[120:121]
	s_or_b64 s[22:23], s[20:21], s[22:23]
	v_cmp_nle_f64_e64 s[20:21], 1.0, v[102:103]
	s_or_b64 s[20:21], s[22:23], s[20:21]
	s_and_b64 exec, exec, s[20:21]
	s_cbranch_execz .LBB1_142
; %bb.134:
	v_cmp_ngt_f64_e64 s[20:21], 0, v[112:113]
	v_cmp_ngt_f64_e64 s[22:23], 0, v[118:119]
	s_or_b64 s[22:23], s[20:21], s[22:23]
	v_cmp_ngt_f64_e64 s[20:21], 0, v[100:101]
	s_or_b64 s[20:21], s[22:23], s[20:21]
	s_and_b64 exec, exec, s[20:21]
	s_cbranch_execz .LBB1_142
; %bb.135:
	v_cmp_nle_f64_e64 s[20:21], 1.0, v[112:113]
	v_cmp_nle_f64_e64 s[22:23], 1.0, v[118:119]
	s_or_b64 s[22:23], s[20:21], s[22:23]
	v_cmp_nle_f64_e64 s[20:21], 1.0, v[100:101]
	s_or_b64 s[20:21], s[22:23], s[20:21]
	s_and_b64 exec, exec, s[20:21]
	s_cbranch_execz .LBB1_142
; %bb.136:
	v_cmp_ngt_f64_e64 s[20:21], 0, v[110:111]
	v_cmp_ngt_f64_e64 s[22:23], 0, v[116:117]
	s_or_b64 s[22:23], s[20:21], s[22:23]
	v_cmp_ngt_f64_e64 s[20:21], 0, v[98:99]
	s_or_b64 s[20:21], s[22:23], s[20:21]
	s_and_b64 exec, exec, s[20:21]
	s_cbranch_execz .LBB1_142
; %bb.137:
	v_cmp_le_f64_e64 s[20:21], 0, v[114:115]
	v_cmp_le_f64_e64 s[22:23], 0, v[120:121]
	s_and_b64 s[22:23], s[20:21], s[22:23]
	v_cmp_le_f64_e64 s[20:21], 0, v[102:103]
	s_and_b64 s[22:23], s[22:23], s[20:21]
	v_cmp_gt_f64_e64 s[20:21], 1.0, v[114:115]
	s_and_b64 s[22:23], s[20:21], s[22:23]
	v_cmp_gt_f64_e64 s[20:21], 1.0, v[120:121]
	;; [unrolled: 2-line block ×3, first 2 shown]
	s_and_b64 s[22:23], s[22:23], s[20:21]
	v_cmp_le_f64_e64 s[20:21], 0, v[112:113]
	s_and_b64 s[22:23], s[20:21], s[22:23]
	v_cmp_le_f64_e64 s[20:21], 0, v[118:119]
	;; [unrolled: 2-line block ×3, first 2 shown]
	s_and_b64 s[22:23], s[22:23], s[20:21]
	v_cmp_gt_f64_e64 s[20:21], 1.0, v[112:113]
	s_and_b64 s[22:23], s[20:21], s[22:23]
	v_cmp_gt_f64_e64 s[20:21], 1.0, v[118:119]
	s_and_b64 s[22:23], s[22:23], s[20:21]
	v_cmp_gt_f64_e64 s[20:21], 1.0, v[100:101]
	s_and_b64 s[20:21], s[22:23], s[20:21]
	v_mov_b32_e32 v123, 8
	s_and_saveexec_b64 s[26:27], s[20:21]
	s_cbranch_execz .LBB1_141
; %bb.138:
	v_cmp_nge_f64_e64 s[20:21], v[110:111], v[34:35]
	v_cmp_nge_f64_e64 s[22:23], v[116:117], v[34:35]
	s_or_b64 s[22:23], s[20:21], s[22:23]
	v_cmp_nge_f64_e64 s[20:21], v[98:99], v[34:35]
	s_or_b64 s[20:21], s[22:23], s[20:21]
	v_mov_b32_e32 v123, 4
	s_and_saveexec_b64 s[28:29], s[20:21]
	s_cbranch_execz .LBB1_140
; %bb.139:
	v_cmp_le_f64_e64 s[20:21], 0, v[110:111]
	v_cmp_le_f64_e64 s[22:23], 0, v[116:117]
	s_and_b64 s[22:23], s[20:21], s[22:23]
	v_cmp_le_f64_e64 s[20:21], 0, v[98:99]
	s_and_b64 s[22:23], s[22:23], s[20:21]
	v_cmp_lt_f64_e64 s[20:21], v[110:111], v[34:35]
	s_and_b64 s[22:23], s[20:21], s[22:23]
	v_cmp_lt_f64_e64 s[20:21], v[116:117], v[34:35]
	;; [unrolled: 2-line block ×3, first 2 shown]
	v_mov_b32_e32 v123, 0
	v_mov_b32_e32 v124, 8
	s_and_b64 s[20:21], s[22:23], s[20:21]
	v_cndmask_b32_e64 v123, v124, v123, s[20:21]
.LBB1_140:
	s_or_b64 exec, exec, s[28:29]
.LBB1_141:
	s_or_b64 exec, exec, s[26:27]
	buffer_load_dword v124, v123, s[0:3], 0 offen
	s_waitcnt vmcnt(0)
	v_or_b32_e32 v124, 0x2000, v124
	buffer_store_dword v124, v123, s[0:3], 0 offen
.LBB1_142:
	s_or_b64 exec, exec, s[24:25]
	s_and_b64 s[20:21], s[12:13], s[18:19]
	s_and_b64 s[20:21], s[20:21], s[4:5]
	s_xor_b64 s[20:21], s[20:21], -1
	s_and_saveexec_b64 s[24:25], s[20:21]
	s_cbranch_execz .LBB1_152
; %bb.143:
	v_cmp_nle_f64_e64 s[20:21], 1.0, v[102:103]
	v_cmp_nle_f64_e64 s[22:23], 1.0, v[120:121]
	s_or_b64 s[22:23], s[20:21], s[22:23]
	v_cmp_nle_f64_e64 s[20:21], 1.0, v[54:55]
	s_or_b64 s[20:21], s[22:23], s[20:21]
	s_and_b64 exec, exec, s[20:21]
	s_cbranch_execz .LBB1_152
; %bb.144:
	v_cmp_ngt_f64_e64 s[20:21], 0, v[100:101]
	v_cmp_ngt_f64_e64 s[22:23], 0, v[118:119]
	s_or_b64 s[22:23], s[20:21], s[22:23]
	v_cmp_ngt_f64_e64 s[20:21], 0, v[52:53]
	s_or_b64 s[20:21], s[22:23], s[20:21]
	s_and_b64 exec, exec, s[20:21]
	s_cbranch_execz .LBB1_152
; %bb.145:
	v_cmp_nle_f64_e64 s[20:21], 1.0, v[100:101]
	v_cmp_nle_f64_e64 s[22:23], 1.0, v[118:119]
	s_or_b64 s[22:23], s[20:21], s[22:23]
	v_cmp_nle_f64_e64 s[20:21], 1.0, v[52:53]
	s_or_b64 s[20:21], s[22:23], s[20:21]
	s_and_b64 exec, exec, s[20:21]
	s_cbranch_execz .LBB1_152
; %bb.146:
	v_cmp_ngt_f64_e64 s[20:21], 0, v[98:99]
	v_cmp_ngt_f64_e64 s[22:23], 0, v[116:117]
	s_or_b64 s[22:23], s[20:21], s[22:23]
	v_cmp_ngt_f64_e64 s[20:21], 0, v[50:51]
	s_or_b64 s[20:21], s[22:23], s[20:21]
	s_and_b64 exec, exec, s[20:21]
	s_cbranch_execz .LBB1_152
; %bb.147:
	v_cmp_le_f64_e64 s[20:21], 0, v[102:103]
	v_cmp_le_f64_e64 s[22:23], 0, v[120:121]
	s_and_b64 s[22:23], s[20:21], s[22:23]
	v_cmp_le_f64_e64 s[20:21], 0, v[54:55]
	s_and_b64 s[22:23], s[22:23], s[20:21]
	v_cmp_gt_f64_e64 s[20:21], 1.0, v[102:103]
	s_and_b64 s[22:23], s[20:21], s[22:23]
	v_cmp_gt_f64_e64 s[20:21], 1.0, v[120:121]
	;; [unrolled: 2-line block ×3, first 2 shown]
	s_and_b64 s[22:23], s[22:23], s[20:21]
	v_cmp_le_f64_e64 s[20:21], 0, v[100:101]
	s_and_b64 s[22:23], s[20:21], s[22:23]
	v_cmp_le_f64_e64 s[20:21], 0, v[118:119]
	s_and_b64 s[22:23], s[22:23], s[20:21]
	v_cmp_le_f64_e64 s[20:21], 0, v[52:53]
	s_and_b64 s[22:23], s[22:23], s[20:21]
	v_cmp_gt_f64_e64 s[20:21], 1.0, v[100:101]
	s_and_b64 s[22:23], s[20:21], s[22:23]
	v_cmp_gt_f64_e64 s[20:21], 1.0, v[118:119]
	;; [unrolled: 2-line block ×3, first 2 shown]
	s_and_b64 s[20:21], s[22:23], s[20:21]
	v_mov_b32_e32 v123, 8
	s_and_saveexec_b64 s[26:27], s[20:21]
	s_cbranch_execz .LBB1_151
; %bb.148:
	v_cmp_nge_f64_e64 s[20:21], v[98:99], v[34:35]
	v_cmp_nge_f64_e64 s[22:23], v[116:117], v[34:35]
	s_or_b64 s[22:23], s[20:21], s[22:23]
	v_cmp_nge_f64_e64 s[20:21], v[50:51], v[34:35]
	s_or_b64 s[20:21], s[22:23], s[20:21]
	v_mov_b32_e32 v123, 4
	s_and_saveexec_b64 s[28:29], s[20:21]
	s_cbranch_execz .LBB1_150
; %bb.149:
	v_cmp_le_f64_e64 s[20:21], 0, v[98:99]
	v_cmp_le_f64_e64 s[22:23], 0, v[116:117]
	s_and_b64 s[22:23], s[20:21], s[22:23]
	v_cmp_le_f64_e64 s[20:21], 0, v[50:51]
	s_and_b64 s[22:23], s[22:23], s[20:21]
	v_cmp_lt_f64_e64 s[20:21], v[98:99], v[34:35]
	s_and_b64 s[22:23], s[20:21], s[22:23]
	v_cmp_lt_f64_e64 s[20:21], v[116:117], v[34:35]
	;; [unrolled: 2-line block ×3, first 2 shown]
	v_mov_b32_e32 v123, 0
	v_mov_b32_e32 v124, 8
	s_and_b64 s[20:21], s[22:23], s[20:21]
	v_cndmask_b32_e64 v123, v124, v123, s[20:21]
.LBB1_150:
	s_or_b64 exec, exec, s[28:29]
.LBB1_151:
	s_or_b64 exec, exec, s[26:27]
	buffer_load_dword v124, v123, s[0:3], 0 offen
	s_waitcnt vmcnt(0)
	v_or_b32_e32 v124, 0x4000, v124
	buffer_store_dword v124, v123, s[0:3], 0 offen
.LBB1_152:
	s_or_b64 exec, exec, s[24:25]
	s_and_b64 s[18:19], s[4:5], s[18:19]
	s_and_b64 s[18:19], s[18:19], s[8:9]
	s_xor_b64 s[18:19], s[18:19], -1
	s_and_saveexec_b64 s[22:23], s[18:19]
	s_cbranch_execz .LBB1_162
; %bb.153:
	v_cmp_nle_f64_e64 s[18:19], 1.0, v[54:55]
	v_cmp_nle_f64_e64 s[20:21], 1.0, v[120:121]
	s_or_b64 s[20:21], s[18:19], s[20:21]
	v_cmp_nle_f64_e64 s[18:19], 1.0, v[68:69]
	s_or_b64 s[18:19], s[20:21], s[18:19]
	s_and_b64 exec, exec, s[18:19]
	s_cbranch_execz .LBB1_162
; %bb.154:
	v_cmp_ngt_f64_e64 s[18:19], 0, v[52:53]
	v_cmp_ngt_f64_e64 s[20:21], 0, v[118:119]
	s_or_b64 s[20:21], s[18:19], s[20:21]
	v_cmp_ngt_f64_e64 s[18:19], 0, v[64:65]
	s_or_b64 s[18:19], s[20:21], s[18:19]
	s_and_b64 exec, exec, s[18:19]
	s_cbranch_execz .LBB1_162
; %bb.155:
	v_cmp_nle_f64_e64 s[18:19], 1.0, v[52:53]
	v_cmp_nle_f64_e64 s[20:21], 1.0, v[118:119]
	s_or_b64 s[20:21], s[18:19], s[20:21]
	v_cmp_nle_f64_e64 s[18:19], 1.0, v[64:65]
	s_or_b64 s[18:19], s[20:21], s[18:19]
	s_and_b64 exec, exec, s[18:19]
	s_cbranch_execz .LBB1_162
; %bb.156:
	v_cmp_ngt_f64_e64 s[18:19], 0, v[50:51]
	v_cmp_ngt_f64_e64 s[20:21], 0, v[116:117]
	s_or_b64 s[20:21], s[18:19], s[20:21]
	v_cmp_ngt_f64_e64 s[18:19], 0, v[58:59]
	s_or_b64 s[18:19], s[20:21], s[18:19]
	s_and_b64 exec, exec, s[18:19]
	s_cbranch_execz .LBB1_162
; %bb.157:
	v_cmp_le_f64_e64 s[18:19], 0, v[54:55]
	v_cmp_le_f64_e64 s[20:21], 0, v[120:121]
	s_and_b64 s[20:21], s[18:19], s[20:21]
	v_cmp_le_f64_e64 s[18:19], 0, v[68:69]
	s_and_b64 s[20:21], s[20:21], s[18:19]
	v_cmp_gt_f64_e64 s[18:19], 1.0, v[54:55]
	s_and_b64 s[20:21], s[18:19], s[20:21]
	v_cmp_gt_f64_e64 s[18:19], 1.0, v[120:121]
	;; [unrolled: 2-line block ×3, first 2 shown]
	s_and_b64 s[20:21], s[20:21], s[18:19]
	v_cmp_le_f64_e64 s[18:19], 0, v[52:53]
	s_and_b64 s[20:21], s[18:19], s[20:21]
	v_cmp_le_f64_e64 s[18:19], 0, v[118:119]
	;; [unrolled: 2-line block ×3, first 2 shown]
	s_and_b64 s[20:21], s[20:21], s[18:19]
	v_cmp_gt_f64_e64 s[18:19], 1.0, v[52:53]
	s_and_b64 s[20:21], s[18:19], s[20:21]
	v_cmp_gt_f64_e64 s[18:19], 1.0, v[118:119]
	;; [unrolled: 2-line block ×3, first 2 shown]
	s_and_b64 s[18:19], s[20:21], s[18:19]
	v_mov_b32_e32 v118, 8
	s_and_saveexec_b64 s[24:25], s[18:19]
	s_cbranch_execz .LBB1_161
; %bb.158:
	v_cmp_nge_f64_e64 s[18:19], v[50:51], v[34:35]
	v_cmp_nge_f64_e64 s[20:21], v[116:117], v[34:35]
	s_or_b64 s[20:21], s[18:19], s[20:21]
	v_cmp_nge_f64_e64 s[18:19], v[58:59], v[34:35]
	s_or_b64 s[18:19], s[20:21], s[18:19]
	v_mov_b32_e32 v118, 4
	s_and_saveexec_b64 s[26:27], s[18:19]
	s_cbranch_execz .LBB1_160
; %bb.159:
	v_cmp_le_f64_e64 s[18:19], 0, v[50:51]
	v_cmp_le_f64_e64 s[20:21], 0, v[116:117]
	s_and_b64 s[20:21], s[18:19], s[20:21]
	v_cmp_le_f64_e64 s[18:19], 0, v[58:59]
	s_and_b64 s[20:21], s[20:21], s[18:19]
	v_cmp_lt_f64_e64 s[18:19], v[50:51], v[34:35]
	s_and_b64 s[20:21], s[18:19], s[20:21]
	v_cmp_lt_f64_e64 s[18:19], v[116:117], v[34:35]
	;; [unrolled: 2-line block ×3, first 2 shown]
	v_mov_b32_e32 v116, 0
	v_mov_b32_e32 v117, 8
	s_and_b64 s[18:19], s[20:21], s[18:19]
	v_cndmask_b32_e64 v118, v117, v116, s[18:19]
.LBB1_160:
	s_or_b64 exec, exec, s[26:27]
.LBB1_161:
	s_or_b64 exec, exec, s[24:25]
	buffer_load_dword v116, v118, s[0:3], 0 offen
	s_waitcnt vmcnt(0)
	v_or_b32_e32 v116, 0x8000, v116
	buffer_store_dword v116, v118, s[0:3], 0 offen
.LBB1_162:
	s_or_b64 exec, exec, s[22:23]
	v_add_f64 v[80:81], v[80:81], v[86:87]
	v_add_f64 v[80:81], v[80:81], v[96:97]
	s_mov_b32 s18, 0
	v_add_f64 v[80:81], v[88:89], v[80:81]
	s_mov_b32 s19, 0x3fd00000
	v_add_f64 v[76:77], v[76:77], v[82:83]
	v_add_f64 v[74:75], v[74:75], v[78:79]
	v_fma_f64 v[80:81], v[80:81], s[18:19], -v[0:1]
	v_add_f64 v[76:77], v[76:77], v[92:93]
	v_add_f64 v[74:75], v[74:75], v[94:95]
	v_mul_f64 v[80:81], v[80:81], v[32:33]
	v_add_f64 v[76:77], v[90:91], v[76:77]
	v_add_f64 v[74:75], v[84:85], v[74:75]
	v_fma_f64 v[76:77], v[76:77], s[18:19], -v[8:9]
	v_fma_f64 v[74:75], v[74:75], s[18:19], -v[4:5]
	v_cmp_gt_f64_e64 s[18:19], 0, v[80:81]
	s_and_b64 s[20:21], s[6:7], s[18:19]
	s_and_b64 s[20:21], s[14:15], s[20:21]
	v_mul_f64 v[76:77], v[76:77], v[6:7]
	s_xor_b64 s[20:21], s[20:21], -1
	s_and_saveexec_b64 s[24:25], s[20:21]
	s_cbranch_execz .LBB1_172
; %bb.163:
	v_cmp_nle_f64_e64 s[20:21], 1.0, v[66:67]
	v_cmp_nle_f64_e64 s[22:23], 1.0, v[80:81]
	s_or_b64 s[22:23], s[20:21], s[22:23]
	v_cmp_nle_f64_e64 s[20:21], 1.0, v[108:109]
	s_or_b64 s[20:21], s[20:21], s[22:23]
	s_and_b64 exec, exec, s[20:21]
	s_cbranch_execz .LBB1_172
; %bb.164:
	v_cmp_ngt_f64_e64 s[20:21], 0, v[60:61]
	v_cmp_ngt_f64_e64 s[22:23], 0, v[76:77]
	s_or_b64 s[22:23], s[20:21], s[22:23]
	v_cmp_ngt_f64_e64 s[20:21], 0, v[106:107]
	s_or_b64 s[20:21], s[22:23], s[20:21]
	s_and_b64 exec, exec, s[20:21]
	s_cbranch_execz .LBB1_172
; %bb.165:
	v_cmp_nle_f64_e64 s[20:21], 1.0, v[60:61]
	v_cmp_nle_f64_e64 s[22:23], 1.0, v[76:77]
	s_or_b64 s[22:23], s[20:21], s[22:23]
	v_cmp_nle_f64_e64 s[20:21], 1.0, v[106:107]
	s_or_b64 s[20:21], s[22:23], s[20:21]
	s_and_b64 exec, exec, s[20:21]
	s_cbranch_execz .LBB1_172
; %bb.166:
	v_cmp_ngt_f64_e64 s[20:21], 0, v[56:57]
	v_cmp_ngt_f64_e64 s[22:23], 0, v[74:75]
	s_or_b64 s[22:23], s[20:21], s[22:23]
	v_cmp_ngt_f64_e64 s[20:21], 0, v[104:105]
	s_or_b64 s[20:21], s[22:23], s[20:21]
	s_and_b64 exec, exec, s[20:21]
	s_cbranch_execz .LBB1_172
; %bb.167:
	v_cmp_le_f64_e64 s[20:21], 0, v[66:67]
	v_cmp_le_f64_e64 s[22:23], 0, v[80:81]
	s_and_b64 s[22:23], s[20:21], s[22:23]
	v_cmp_le_f64_e64 s[20:21], 0, v[108:109]
	s_and_b64 s[22:23], s[20:21], s[22:23]
	v_cmp_gt_f64_e64 s[20:21], 1.0, v[66:67]
	s_and_b64 s[22:23], s[20:21], s[22:23]
	v_cmp_gt_f64_e64 s[20:21], 1.0, v[80:81]
	;; [unrolled: 2-line block ×3, first 2 shown]
	s_and_b64 s[22:23], s[20:21], s[22:23]
	v_cmp_le_f64_e64 s[20:21], 0, v[60:61]
	s_and_b64 s[22:23], s[20:21], s[22:23]
	v_cmp_le_f64_e64 s[20:21], 0, v[76:77]
	;; [unrolled: 2-line block ×3, first 2 shown]
	s_and_b64 s[22:23], s[22:23], s[20:21]
	v_cmp_gt_f64_e64 s[20:21], 1.0, v[60:61]
	s_and_b64 s[22:23], s[20:21], s[22:23]
	v_cmp_gt_f64_e64 s[20:21], 1.0, v[76:77]
	;; [unrolled: 2-line block ×3, first 2 shown]
	s_and_b64 s[20:21], s[22:23], s[20:21]
	v_mov_b32_e32 v78, 8
	s_and_saveexec_b64 s[26:27], s[20:21]
	s_cbranch_execz .LBB1_171
; %bb.168:
	v_cmp_nge_f64_e64 s[20:21], v[56:57], v[34:35]
	v_cmp_nge_f64_e64 s[22:23], v[74:75], v[34:35]
	s_or_b64 s[22:23], s[20:21], s[22:23]
	v_cmp_nge_f64_e64 s[20:21], v[104:105], v[34:35]
	s_or_b64 s[20:21], s[22:23], s[20:21]
	v_mov_b32_e32 v78, 4
	s_and_saveexec_b64 s[28:29], s[20:21]
	s_cbranch_execz .LBB1_170
; %bb.169:
	v_cmp_le_f64_e64 s[20:21], 0, v[56:57]
	v_cmp_le_f64_e64 s[22:23], 0, v[74:75]
	s_and_b64 s[22:23], s[20:21], s[22:23]
	v_cmp_le_f64_e64 s[20:21], 0, v[104:105]
	s_and_b64 s[22:23], s[22:23], s[20:21]
	v_cmp_lt_f64_e64 s[20:21], v[56:57], v[34:35]
	s_and_b64 s[22:23], s[20:21], s[22:23]
	v_cmp_lt_f64_e64 s[20:21], v[74:75], v[34:35]
	;; [unrolled: 2-line block ×3, first 2 shown]
	v_mov_b32_e32 v78, 0
	v_mov_b32_e32 v79, 8
	s_and_b64 s[20:21], s[22:23], s[20:21]
	v_cndmask_b32_e64 v78, v79, v78, s[20:21]
.LBB1_170:
	s_or_b64 exec, exec, s[28:29]
.LBB1_171:
	s_or_b64 exec, exec, s[26:27]
	buffer_load_dword v79, v78, s[0:3], 0 offen
	s_waitcnt vmcnt(0)
	v_or_b32_e32 v79, 0x10000, v79
	buffer_store_dword v79, v78, s[0:3], 0 offen
.LBB1_172:
	s_or_b64 exec, exec, s[24:25]
	s_and_b64 s[14:15], s[14:15], s[18:19]
	s_and_b64 s[14:15], s[14:15], s[16:17]
	s_xor_b64 s[14:15], s[14:15], -1
	s_and_saveexec_b64 s[22:23], s[14:15]
	s_cbranch_execz .LBB1_182
; %bb.173:
	v_cmp_nle_f64_e64 s[14:15], 1.0, v[108:109]
	v_cmp_nle_f64_e64 s[20:21], 1.0, v[80:81]
	s_or_b64 s[20:21], s[14:15], s[20:21]
	v_cmp_nle_f64_e64 s[14:15], 1.0, v[114:115]
	s_or_b64 s[14:15], s[20:21], s[14:15]
	s_and_b64 exec, exec, s[14:15]
	s_cbranch_execz .LBB1_182
; %bb.174:
	v_cmp_ngt_f64_e64 s[14:15], 0, v[106:107]
	v_cmp_ngt_f64_e64 s[20:21], 0, v[76:77]
	s_or_b64 s[20:21], s[14:15], s[20:21]
	v_cmp_ngt_f64_e64 s[14:15], 0, v[112:113]
	s_or_b64 s[14:15], s[20:21], s[14:15]
	s_and_b64 exec, exec, s[14:15]
	s_cbranch_execz .LBB1_182
; %bb.175:
	v_cmp_nle_f64_e64 s[14:15], 1.0, v[106:107]
	v_cmp_nle_f64_e64 s[20:21], 1.0, v[76:77]
	s_or_b64 s[20:21], s[14:15], s[20:21]
	v_cmp_nle_f64_e64 s[14:15], 1.0, v[112:113]
	s_or_b64 s[14:15], s[20:21], s[14:15]
	s_and_b64 exec, exec, s[14:15]
	s_cbranch_execz .LBB1_182
; %bb.176:
	v_cmp_ngt_f64_e64 s[14:15], 0, v[104:105]
	v_cmp_ngt_f64_e64 s[20:21], 0, v[74:75]
	s_or_b64 s[20:21], s[14:15], s[20:21]
	v_cmp_ngt_f64_e64 s[14:15], 0, v[110:111]
	s_or_b64 s[14:15], s[20:21], s[14:15]
	s_and_b64 exec, exec, s[14:15]
	s_cbranch_execz .LBB1_182
; %bb.177:
	v_cmp_le_f64_e64 s[14:15], 0, v[108:109]
	v_cmp_le_f64_e64 s[20:21], 0, v[80:81]
	s_and_b64 s[20:21], s[14:15], s[20:21]
	v_cmp_le_f64_e64 s[14:15], 0, v[114:115]
	s_and_b64 s[20:21], s[20:21], s[14:15]
	v_cmp_gt_f64_e64 s[14:15], 1.0, v[108:109]
	s_and_b64 s[20:21], s[14:15], s[20:21]
	v_cmp_gt_f64_e64 s[14:15], 1.0, v[80:81]
	;; [unrolled: 2-line block ×3, first 2 shown]
	s_and_b64 s[20:21], s[20:21], s[14:15]
	v_cmp_le_f64_e64 s[14:15], 0, v[106:107]
	s_and_b64 s[20:21], s[14:15], s[20:21]
	v_cmp_le_f64_e64 s[14:15], 0, v[76:77]
	;; [unrolled: 2-line block ×3, first 2 shown]
	s_and_b64 s[20:21], s[20:21], s[14:15]
	v_cmp_gt_f64_e64 s[14:15], 1.0, v[106:107]
	s_and_b64 s[20:21], s[14:15], s[20:21]
	v_cmp_gt_f64_e64 s[14:15], 1.0, v[76:77]
	;; [unrolled: 2-line block ×3, first 2 shown]
	s_and_b64 s[14:15], s[20:21], s[14:15]
	v_mov_b32_e32 v78, 8
	s_and_saveexec_b64 s[24:25], s[14:15]
	s_cbranch_execz .LBB1_181
; %bb.178:
	v_cmp_nge_f64_e64 s[14:15], v[104:105], v[34:35]
	v_cmp_nge_f64_e64 s[20:21], v[74:75], v[34:35]
	s_or_b64 s[20:21], s[14:15], s[20:21]
	v_cmp_nge_f64_e64 s[14:15], v[110:111], v[34:35]
	s_or_b64 s[14:15], s[20:21], s[14:15]
	v_mov_b32_e32 v78, 4
	s_and_saveexec_b64 s[26:27], s[14:15]
	s_cbranch_execz .LBB1_180
; %bb.179:
	v_cmp_le_f64_e64 s[14:15], 0, v[104:105]
	v_cmp_le_f64_e64 s[20:21], 0, v[74:75]
	s_and_b64 s[20:21], s[14:15], s[20:21]
	v_cmp_le_f64_e64 s[14:15], 0, v[110:111]
	s_and_b64 s[20:21], s[20:21], s[14:15]
	v_cmp_lt_f64_e64 s[14:15], v[104:105], v[34:35]
	s_and_b64 s[20:21], s[14:15], s[20:21]
	v_cmp_lt_f64_e64 s[14:15], v[74:75], v[34:35]
	;; [unrolled: 2-line block ×3, first 2 shown]
	v_mov_b32_e32 v78, 0
	v_mov_b32_e32 v79, 8
	s_and_b64 s[14:15], s[20:21], s[14:15]
	v_cndmask_b32_e64 v78, v79, v78, s[14:15]
.LBB1_180:
	s_or_b64 exec, exec, s[26:27]
.LBB1_181:
	s_or_b64 exec, exec, s[24:25]
	buffer_load_dword v79, v78, s[0:3], 0 offen
	s_waitcnt vmcnt(0)
	v_or_b32_e32 v79, 0x20000, v79
	buffer_store_dword v79, v78, s[0:3], 0 offen
.LBB1_182:
	s_or_b64 exec, exec, s[22:23]
	s_and_b64 s[14:15], s[16:17], s[18:19]
	s_and_b64 s[14:15], s[14:15], s[8:9]
	s_xor_b64 s[14:15], s[14:15], -1
	s_and_saveexec_b64 s[20:21], s[14:15]
	s_cbranch_execz .LBB1_192
; %bb.183:
	v_cmp_nle_f64_e64 s[14:15], 1.0, v[114:115]
	v_cmp_nle_f64_e64 s[16:17], 1.0, v[80:81]
	s_or_b64 s[16:17], s[14:15], s[16:17]
	v_cmp_nle_f64_e64 s[14:15], 1.0, v[68:69]
	s_or_b64 s[14:15], s[16:17], s[14:15]
	s_and_b64 exec, exec, s[14:15]
	s_cbranch_execz .LBB1_192
; %bb.184:
	v_cmp_ngt_f64_e64 s[14:15], 0, v[112:113]
	v_cmp_ngt_f64_e64 s[16:17], 0, v[76:77]
	s_or_b64 s[16:17], s[14:15], s[16:17]
	v_cmp_ngt_f64_e64 s[14:15], 0, v[64:65]
	s_or_b64 s[14:15], s[16:17], s[14:15]
	s_and_b64 exec, exec, s[14:15]
	s_cbranch_execz .LBB1_192
; %bb.185:
	v_cmp_nle_f64_e64 s[14:15], 1.0, v[112:113]
	v_cmp_nle_f64_e64 s[16:17], 1.0, v[76:77]
	s_or_b64 s[16:17], s[14:15], s[16:17]
	v_cmp_nle_f64_e64 s[14:15], 1.0, v[64:65]
	s_or_b64 s[14:15], s[16:17], s[14:15]
	s_and_b64 exec, exec, s[14:15]
	s_cbranch_execz .LBB1_192
; %bb.186:
	v_cmp_ngt_f64_e64 s[14:15], 0, v[110:111]
	v_cmp_ngt_f64_e64 s[16:17], 0, v[74:75]
	s_or_b64 s[16:17], s[14:15], s[16:17]
	v_cmp_ngt_f64_e64 s[14:15], 0, v[58:59]
	s_or_b64 s[14:15], s[16:17], s[14:15]
	s_and_b64 exec, exec, s[14:15]
	s_cbranch_execz .LBB1_192
; %bb.187:
	v_cmp_le_f64_e64 s[14:15], 0, v[114:115]
	v_cmp_le_f64_e64 s[16:17], 0, v[80:81]
	s_and_b64 s[16:17], s[14:15], s[16:17]
	v_cmp_le_f64_e64 s[14:15], 0, v[68:69]
	s_and_b64 s[16:17], s[16:17], s[14:15]
	v_cmp_gt_f64_e64 s[14:15], 1.0, v[114:115]
	s_and_b64 s[16:17], s[14:15], s[16:17]
	v_cmp_gt_f64_e64 s[14:15], 1.0, v[80:81]
	s_and_b64 s[16:17], s[16:17], s[14:15]
	v_cmp_gt_f64_e64 s[14:15], 1.0, v[68:69]
	s_and_b64 s[16:17], s[16:17], s[14:15]
	v_cmp_le_f64_e64 s[14:15], 0, v[112:113]
	s_and_b64 s[16:17], s[14:15], s[16:17]
	v_cmp_le_f64_e64 s[14:15], 0, v[76:77]
	s_and_b64 s[16:17], s[16:17], s[14:15]
	v_cmp_le_f64_e64 s[14:15], 0, v[64:65]
	s_and_b64 s[16:17], s[16:17], s[14:15]
	v_cmp_gt_f64_e64 s[14:15], 1.0, v[112:113]
	s_and_b64 s[16:17], s[14:15], s[16:17]
	v_cmp_gt_f64_e64 s[14:15], 1.0, v[76:77]
	;; [unrolled: 2-line block ×3, first 2 shown]
	s_and_b64 s[14:15], s[16:17], s[14:15]
	v_mov_b32_e32 v78, 8
	s_and_saveexec_b64 s[22:23], s[14:15]
	s_cbranch_execz .LBB1_191
; %bb.188:
	v_cmp_nge_f64_e64 s[14:15], v[110:111], v[34:35]
	v_cmp_nge_f64_e64 s[16:17], v[74:75], v[34:35]
	s_or_b64 s[16:17], s[14:15], s[16:17]
	v_cmp_nge_f64_e64 s[14:15], v[58:59], v[34:35]
	s_or_b64 s[14:15], s[16:17], s[14:15]
	v_mov_b32_e32 v78, 4
	s_and_saveexec_b64 s[24:25], s[14:15]
	s_cbranch_execz .LBB1_190
; %bb.189:
	v_cmp_le_f64_e64 s[14:15], 0, v[110:111]
	v_cmp_le_f64_e64 s[16:17], 0, v[74:75]
	s_and_b64 s[16:17], s[14:15], s[16:17]
	v_cmp_le_f64_e64 s[14:15], 0, v[58:59]
	s_and_b64 s[16:17], s[16:17], s[14:15]
	v_cmp_lt_f64_e64 s[14:15], v[110:111], v[34:35]
	s_and_b64 s[16:17], s[14:15], s[16:17]
	v_cmp_lt_f64_e64 s[14:15], v[74:75], v[34:35]
	s_and_b64 s[16:17], s[16:17], s[14:15]
	v_cmp_lt_f64_e64 s[14:15], v[58:59], v[34:35]
	v_mov_b32_e32 v78, 0
	v_mov_b32_e32 v79, 8
	s_and_b64 s[14:15], s[16:17], s[14:15]
	v_cndmask_b32_e64 v78, v79, v78, s[14:15]
.LBB1_190:
	s_or_b64 exec, exec, s[24:25]
.LBB1_191:
	s_or_b64 exec, exec, s[22:23]
	buffer_load_dword v79, v78, s[0:3], 0 offen
	s_waitcnt vmcnt(0)
	v_or_b32_e32 v79, 0x40000, v79
	buffer_store_dword v79, v78, s[0:3], 0 offen
.LBB1_192:
	s_or_b64 exec, exec, s[20:21]
	s_and_b64 s[8:9], s[8:9], s[18:19]
	s_and_b64 s[6:7], s[6:7], s[8:9]
	s_xor_b64 s[6:7], s[6:7], -1
	s_and_saveexec_b64 s[14:15], s[6:7]
	s_cbranch_execz .LBB1_202
; %bb.193:
	v_cmp_nle_f64_e64 s[6:7], 1.0, v[68:69]
	v_cmp_nle_f64_e64 s[8:9], 1.0, v[80:81]
	s_or_b64 s[8:9], s[6:7], s[8:9]
	v_cmp_nle_f64_e64 s[6:7], 1.0, v[66:67]
	s_or_b64 s[6:7], s[6:7], s[8:9]
	s_and_b64 exec, exec, s[6:7]
	s_cbranch_execz .LBB1_202
; %bb.194:
	v_cmp_ngt_f64_e64 s[6:7], 0, v[64:65]
	v_cmp_ngt_f64_e64 s[8:9], 0, v[76:77]
	s_or_b64 s[8:9], s[6:7], s[8:9]
	v_cmp_ngt_f64_e64 s[6:7], 0, v[60:61]
	s_or_b64 s[6:7], s[8:9], s[6:7]
	s_and_b64 exec, exec, s[6:7]
	s_cbranch_execz .LBB1_202
; %bb.195:
	v_cmp_nle_f64_e64 s[6:7], 1.0, v[64:65]
	v_cmp_nle_f64_e64 s[8:9], 1.0, v[76:77]
	s_or_b64 s[8:9], s[6:7], s[8:9]
	v_cmp_nle_f64_e64 s[6:7], 1.0, v[60:61]
	s_or_b64 s[6:7], s[8:9], s[6:7]
	s_and_b64 exec, exec, s[6:7]
	s_cbranch_execz .LBB1_202
; %bb.196:
	v_cmp_ngt_f64_e64 s[6:7], 0, v[58:59]
	v_cmp_ngt_f64_e64 s[8:9], 0, v[74:75]
	s_or_b64 s[8:9], s[6:7], s[8:9]
	v_cmp_ngt_f64_e64 s[6:7], 0, v[56:57]
	s_or_b64 s[6:7], s[8:9], s[6:7]
	s_and_b64 exec, exec, s[6:7]
	s_cbranch_execz .LBB1_202
; %bb.197:
	v_cmp_le_f64_e64 s[6:7], 0, v[68:69]
	v_cmp_le_f64_e64 s[8:9], 0, v[80:81]
	s_and_b64 s[8:9], s[6:7], s[8:9]
	v_cmp_le_f64_e64 s[6:7], 0, v[66:67]
	s_and_b64 s[8:9], s[6:7], s[8:9]
	v_cmp_gt_f64_e64 s[6:7], 1.0, v[68:69]
	s_and_b64 s[8:9], s[6:7], s[8:9]
	v_cmp_gt_f64_e64 s[6:7], 1.0, v[80:81]
	;; [unrolled: 2-line block ×3, first 2 shown]
	s_and_b64 s[8:9], s[6:7], s[8:9]
	v_cmp_le_f64_e64 s[6:7], 0, v[64:65]
	s_and_b64 s[8:9], s[6:7], s[8:9]
	v_cmp_le_f64_e64 s[6:7], 0, v[76:77]
	;; [unrolled: 2-line block ×3, first 2 shown]
	s_and_b64 s[8:9], s[8:9], s[6:7]
	v_cmp_gt_f64_e64 s[6:7], 1.0, v[64:65]
	s_and_b64 s[8:9], s[6:7], s[8:9]
	v_cmp_gt_f64_e64 s[6:7], 1.0, v[76:77]
	s_and_b64 s[8:9], s[8:9], s[6:7]
	v_cmp_gt_f64_e64 s[6:7], 1.0, v[60:61]
	s_and_b64 s[6:7], s[8:9], s[6:7]
	v_mov_b32_e32 v60, 8
	s_and_saveexec_b64 s[16:17], s[6:7]
	s_cbranch_execz .LBB1_201
; %bb.198:
	v_cmp_nge_f64_e64 s[6:7], v[58:59], v[34:35]
	v_cmp_nge_f64_e64 s[8:9], v[74:75], v[34:35]
	s_or_b64 s[8:9], s[6:7], s[8:9]
	v_cmp_nge_f64_e64 s[6:7], v[56:57], v[34:35]
	s_or_b64 s[6:7], s[8:9], s[6:7]
	v_mov_b32_e32 v60, 4
	s_and_saveexec_b64 s[18:19], s[6:7]
	s_cbranch_execz .LBB1_200
; %bb.199:
	v_cmp_le_f64_e64 s[6:7], 0, v[58:59]
	v_cmp_le_f64_e64 s[8:9], 0, v[74:75]
	s_and_b64 s[8:9], s[6:7], s[8:9]
	v_cmp_le_f64_e64 s[6:7], 0, v[56:57]
	s_and_b64 s[8:9], s[8:9], s[6:7]
	v_cmp_lt_f64_e64 s[6:7], v[58:59], v[34:35]
	s_and_b64 s[8:9], s[6:7], s[8:9]
	v_cmp_lt_f64_e64 s[6:7], v[74:75], v[34:35]
	;; [unrolled: 2-line block ×3, first 2 shown]
	v_mov_b32_e32 v56, 0
	v_mov_b32_e32 v57, 8
	s_and_b64 s[6:7], s[8:9], s[6:7]
	v_cndmask_b32_e64 v60, v57, v56, s[6:7]
.LBB1_200:
	s_or_b64 exec, exec, s[18:19]
.LBB1_201:
	s_or_b64 exec, exec, s[16:17]
	buffer_load_dword v56, v60, s[0:3], 0 offen
	s_waitcnt vmcnt(0)
	v_or_b32_e32 v56, 0x80000, v56
	buffer_store_dword v56, v60, s[0:3], 0 offen
.LBB1_202:
	s_or_b64 exec, exec, s[14:15]
	v_add_f64 v[20:21], v[20:21], v[28:29]
	v_add_f64 v[20:21], v[20:21], v[42:43]
	s_mov_b32 s6, 0
	v_add_f64 v[20:21], v[24:25], v[20:21]
	s_mov_b32 s7, 0x3fd00000
	v_add_f64 v[16:17], v[16:17], v[36:37]
	v_add_f64 v[12:13], v[12:13], v[26:27]
	v_fma_f64 v[20:21], v[20:21], s[6:7], -v[0:1]
	v_add_f64 v[16:17], v[16:17], v[38:39]
	v_add_f64 v[12:13], v[12:13], v[40:41]
	v_mul_f64 v[20:21], v[20:21], v[32:33]
	v_add_f64 v[16:17], v[22:23], v[16:17]
	v_add_f64 v[12:13], v[18:19], v[12:13]
	v_fma_f64 v[16:17], v[16:17], s[6:7], -v[8:9]
	v_fma_f64 v[12:13], v[12:13], s[6:7], -v[4:5]
	v_cmp_gt_f64_e64 s[6:7], 0, v[20:21]
	s_and_b64 s[8:9], vcc, s[6:7]
	s_and_b64 s[8:9], s[8:9], s[4:5]
	v_mul_f64 v[16:17], v[16:17], v[6:7]
	s_xor_b64 s[8:9], s[8:9], -1
	s_and_saveexec_b64 s[16:17], s[8:9]
	s_cbranch_execz .LBB1_212
; %bb.203:
	v_cmp_nle_f64_e64 s[8:9], 1.0, v[48:49]
	v_cmp_nle_f64_e64 s[14:15], 1.0, v[20:21]
	s_or_b64 s[14:15], s[8:9], s[14:15]
	v_cmp_nle_f64_e64 s[8:9], 1.0, v[54:55]
	s_or_b64 s[8:9], s[14:15], s[8:9]
	s_and_b64 exec, exec, s[8:9]
	s_cbranch_execz .LBB1_212
; %bb.204:
	v_cmp_ngt_f64_e64 s[8:9], 0, v[46:47]
	v_cmp_ngt_f64_e64 s[14:15], 0, v[16:17]
	s_or_b64 s[14:15], s[8:9], s[14:15]
	v_cmp_ngt_f64_e64 s[8:9], 0, v[52:53]
	s_or_b64 s[8:9], s[14:15], s[8:9]
	s_and_b64 exec, exec, s[8:9]
	s_cbranch_execz .LBB1_212
; %bb.205:
	v_cmp_nle_f64_e64 s[8:9], 1.0, v[46:47]
	v_cmp_nle_f64_e64 s[14:15], 1.0, v[16:17]
	s_or_b64 s[14:15], s[8:9], s[14:15]
	v_cmp_nle_f64_e64 s[8:9], 1.0, v[52:53]
	s_or_b64 s[8:9], s[14:15], s[8:9]
	s_and_b64 exec, exec, s[8:9]
	s_cbranch_execz .LBB1_212
; %bb.206:
	v_cmp_ngt_f64_e64 s[8:9], 0, v[44:45]
	v_cmp_ngt_f64_e64 s[14:15], 0, v[12:13]
	s_or_b64 s[14:15], s[8:9], s[14:15]
	v_cmp_ngt_f64_e64 s[8:9], 0, v[50:51]
	s_or_b64 s[8:9], s[14:15], s[8:9]
	s_and_b64 exec, exec, s[8:9]
	s_cbranch_execz .LBB1_212
; %bb.207:
	v_cmp_le_f64_e64 s[8:9], 0, v[48:49]
	v_cmp_le_f64_e64 s[14:15], 0, v[20:21]
	s_and_b64 s[14:15], s[8:9], s[14:15]
	v_cmp_le_f64_e64 s[8:9], 0, v[54:55]
	s_and_b64 s[14:15], s[14:15], s[8:9]
	v_cmp_gt_f64_e64 s[8:9], 1.0, v[48:49]
	s_and_b64 s[14:15], s[8:9], s[14:15]
	v_cmp_gt_f64_e64 s[8:9], 1.0, v[20:21]
	s_and_b64 s[14:15], s[14:15], s[8:9]
	v_cmp_gt_f64_e64 s[8:9], 1.0, v[54:55]
	s_and_b64 s[14:15], s[14:15], s[8:9]
	v_cmp_le_f64_e64 s[8:9], 0, v[46:47]
	s_and_b64 s[14:15], s[8:9], s[14:15]
	v_cmp_le_f64_e64 s[8:9], 0, v[16:17]
	;; [unrolled: 2-line block ×3, first 2 shown]
	s_and_b64 s[14:15], s[14:15], s[8:9]
	v_cmp_gt_f64_e64 s[8:9], 1.0, v[46:47]
	s_and_b64 s[14:15], s[8:9], s[14:15]
	v_cmp_gt_f64_e64 s[8:9], 1.0, v[16:17]
	;; [unrolled: 2-line block ×3, first 2 shown]
	s_and_b64 s[8:9], s[14:15], s[8:9]
	v_mov_b32_e32 v18, 8
	s_and_saveexec_b64 s[18:19], s[8:9]
	s_cbranch_execz .LBB1_211
; %bb.208:
	v_cmp_nge_f64_e64 s[8:9], v[44:45], v[34:35]
	v_cmp_nge_f64_e64 s[14:15], v[12:13], v[34:35]
	s_or_b64 s[14:15], s[8:9], s[14:15]
	v_cmp_nge_f64_e64 s[8:9], v[50:51], v[34:35]
	s_or_b64 s[8:9], s[14:15], s[8:9]
	v_mov_b32_e32 v18, 4
	s_and_saveexec_b64 s[20:21], s[8:9]
	s_cbranch_execz .LBB1_210
; %bb.209:
	v_cmp_le_f64_e64 s[8:9], 0, v[44:45]
	v_cmp_le_f64_e64 s[14:15], 0, v[12:13]
	s_and_b64 s[14:15], s[8:9], s[14:15]
	v_cmp_le_f64_e64 s[8:9], 0, v[50:51]
	s_and_b64 s[14:15], s[14:15], s[8:9]
	v_cmp_lt_f64_e64 s[8:9], v[44:45], v[34:35]
	s_and_b64 s[14:15], s[8:9], s[14:15]
	v_cmp_lt_f64_e64 s[8:9], v[12:13], v[34:35]
	;; [unrolled: 2-line block ×3, first 2 shown]
	v_mov_b32_e32 v18, 0
	v_mov_b32_e32 v19, 8
	s_and_b64 s[8:9], s[14:15], s[8:9]
	v_cndmask_b32_e64 v18, v19, v18, s[8:9]
.LBB1_210:
	s_or_b64 exec, exec, s[20:21]
.LBB1_211:
	s_or_b64 exec, exec, s[18:19]
	buffer_load_dword v19, v18, s[0:3], 0 offen
	s_waitcnt vmcnt(0)
	v_or_b32_e32 v19, 0x100000, v19
	buffer_store_dword v19, v18, s[0:3], 0 offen
.LBB1_212:
	s_or_b64 exec, exec, s[16:17]
	s_and_b64 s[4:5], s[4:5], s[6:7]
	s_and_b64 s[4:5], s[4:5], s[12:13]
	s_xor_b64 s[4:5], s[4:5], -1
	s_and_saveexec_b64 s[14:15], s[4:5]
	s_cbranch_execz .LBB1_222
; %bb.213:
	v_cmp_nle_f64_e64 s[4:5], 1.0, v[54:55]
	v_cmp_nle_f64_e64 s[8:9], 1.0, v[20:21]
	s_or_b64 s[8:9], s[4:5], s[8:9]
	v_cmp_nle_f64_e64 s[4:5], 1.0, v[102:103]
	s_or_b64 s[4:5], s[8:9], s[4:5]
	s_and_b64 exec, exec, s[4:5]
	s_cbranch_execz .LBB1_222
; %bb.214:
	v_cmp_ngt_f64_e64 s[4:5], 0, v[52:53]
	v_cmp_ngt_f64_e64 s[8:9], 0, v[16:17]
	s_or_b64 s[8:9], s[4:5], s[8:9]
	v_cmp_ngt_f64_e64 s[4:5], 0, v[100:101]
	s_or_b64 s[4:5], s[8:9], s[4:5]
	s_and_b64 exec, exec, s[4:5]
	s_cbranch_execz .LBB1_222
; %bb.215:
	v_cmp_nle_f64_e64 s[4:5], 1.0, v[52:53]
	v_cmp_nle_f64_e64 s[8:9], 1.0, v[16:17]
	s_or_b64 s[8:9], s[4:5], s[8:9]
	v_cmp_nle_f64_e64 s[4:5], 1.0, v[100:101]
	s_or_b64 s[4:5], s[8:9], s[4:5]
	s_and_b64 exec, exec, s[4:5]
	s_cbranch_execz .LBB1_222
; %bb.216:
	v_cmp_ngt_f64_e64 s[4:5], 0, v[50:51]
	v_cmp_ngt_f64_e64 s[8:9], 0, v[12:13]
	s_or_b64 s[8:9], s[4:5], s[8:9]
	v_cmp_ngt_f64_e64 s[4:5], 0, v[98:99]
	s_or_b64 s[4:5], s[8:9], s[4:5]
	s_and_b64 exec, exec, s[4:5]
	s_cbranch_execz .LBB1_222
; %bb.217:
	v_cmp_le_f64_e64 s[4:5], 0, v[54:55]
	v_cmp_le_f64_e64 s[8:9], 0, v[20:21]
	s_and_b64 s[8:9], s[4:5], s[8:9]
	v_cmp_le_f64_e64 s[4:5], 0, v[102:103]
	s_and_b64 s[8:9], s[8:9], s[4:5]
	v_cmp_gt_f64_e64 s[4:5], 1.0, v[54:55]
	s_and_b64 s[8:9], s[4:5], s[8:9]
	v_cmp_gt_f64_e64 s[4:5], 1.0, v[20:21]
	;; [unrolled: 2-line block ×3, first 2 shown]
	s_and_b64 s[8:9], s[8:9], s[4:5]
	v_cmp_le_f64_e64 s[4:5], 0, v[52:53]
	s_and_b64 s[8:9], s[4:5], s[8:9]
	v_cmp_le_f64_e64 s[4:5], 0, v[16:17]
	;; [unrolled: 2-line block ×3, first 2 shown]
	s_and_b64 s[8:9], s[8:9], s[4:5]
	v_cmp_gt_f64_e64 s[4:5], 1.0, v[52:53]
	s_and_b64 s[8:9], s[4:5], s[8:9]
	v_cmp_gt_f64_e64 s[4:5], 1.0, v[16:17]
	;; [unrolled: 2-line block ×3, first 2 shown]
	s_and_b64 s[4:5], s[8:9], s[4:5]
	v_mov_b32_e32 v18, 8
	s_and_saveexec_b64 s[16:17], s[4:5]
	s_cbranch_execz .LBB1_221
; %bb.218:
	v_cmp_nge_f64_e64 s[4:5], v[50:51], v[34:35]
	v_cmp_nge_f64_e64 s[8:9], v[12:13], v[34:35]
	s_or_b64 s[8:9], s[4:5], s[8:9]
	v_cmp_nge_f64_e64 s[4:5], v[98:99], v[34:35]
	s_or_b64 s[4:5], s[8:9], s[4:5]
	v_mov_b32_e32 v18, 4
	s_and_saveexec_b64 s[18:19], s[4:5]
	s_cbranch_execz .LBB1_220
; %bb.219:
	v_cmp_le_f64_e64 s[4:5], 0, v[50:51]
	v_cmp_le_f64_e64 s[8:9], 0, v[12:13]
	s_and_b64 s[8:9], s[4:5], s[8:9]
	v_cmp_le_f64_e64 s[4:5], 0, v[98:99]
	s_and_b64 s[8:9], s[8:9], s[4:5]
	v_cmp_lt_f64_e64 s[4:5], v[50:51], v[34:35]
	s_and_b64 s[8:9], s[4:5], s[8:9]
	v_cmp_lt_f64_e64 s[4:5], v[12:13], v[34:35]
	;; [unrolled: 2-line block ×3, first 2 shown]
	v_mov_b32_e32 v18, 0
	v_mov_b32_e32 v19, 8
	s_and_b64 s[4:5], s[8:9], s[4:5]
	v_cndmask_b32_e64 v18, v19, v18, s[4:5]
.LBB1_220:
	s_or_b64 exec, exec, s[18:19]
.LBB1_221:
	s_or_b64 exec, exec, s[16:17]
	buffer_load_dword v19, v18, s[0:3], 0 offen
	s_waitcnt vmcnt(0)
	v_or_b32_e32 v19, 0x200000, v19
	buffer_store_dword v19, v18, s[0:3], 0 offen
.LBB1_222:
	s_or_b64 exec, exec, s[14:15]
	s_and_b64 s[4:5], s[12:13], s[6:7]
	s_and_b64 s[4:5], s[4:5], s[10:11]
	s_xor_b64 s[4:5], s[4:5], -1
	s_and_saveexec_b64 s[12:13], s[4:5]
	s_cbranch_execz .LBB1_232
; %bb.223:
	v_cmp_nle_f64_e64 s[4:5], 1.0, v[102:103]
	v_cmp_nle_f64_e64 s[8:9], 1.0, v[20:21]
	s_or_b64 s[8:9], s[4:5], s[8:9]
	v_cmp_nle_f64_e64 s[4:5], 1.0, v[72:73]
	s_or_b64 s[4:5], s[8:9], s[4:5]
	s_and_b64 exec, exec, s[4:5]
	s_cbranch_execz .LBB1_232
; %bb.224:
	v_cmp_ngt_f64_e64 s[4:5], 0, v[100:101]
	v_cmp_ngt_f64_e64 s[8:9], 0, v[16:17]
	s_or_b64 s[8:9], s[4:5], s[8:9]
	v_cmp_ngt_f64_e64 s[4:5], 0, v[70:71]
	s_or_b64 s[4:5], s[8:9], s[4:5]
	s_and_b64 exec, exec, s[4:5]
	s_cbranch_execz .LBB1_232
; %bb.225:
	v_cmp_nle_f64_e64 s[4:5], 1.0, v[100:101]
	v_cmp_nle_f64_e64 s[8:9], 1.0, v[16:17]
	s_or_b64 s[8:9], s[4:5], s[8:9]
	v_cmp_nle_f64_e64 s[4:5], 1.0, v[70:71]
	s_or_b64 s[4:5], s[8:9], s[4:5]
	s_and_b64 exec, exec, s[4:5]
	s_cbranch_execz .LBB1_232
; %bb.226:
	v_cmp_ngt_f64_e64 s[4:5], 0, v[98:99]
	v_cmp_ngt_f64_e64 s[8:9], 0, v[12:13]
	s_or_b64 s[8:9], s[4:5], s[8:9]
	v_cmp_ngt_f64_e64 s[4:5], 0, v[62:63]
	s_or_b64 s[4:5], s[8:9], s[4:5]
	s_and_b64 exec, exec, s[4:5]
	s_cbranch_execz .LBB1_232
; %bb.227:
	v_cmp_le_f64_e64 s[4:5], 0, v[102:103]
	v_cmp_le_f64_e64 s[8:9], 0, v[20:21]
	s_and_b64 s[8:9], s[4:5], s[8:9]
	v_cmp_le_f64_e64 s[4:5], 0, v[72:73]
	s_and_b64 s[8:9], s[8:9], s[4:5]
	v_cmp_gt_f64_e64 s[4:5], 1.0, v[102:103]
	s_and_b64 s[8:9], s[4:5], s[8:9]
	v_cmp_gt_f64_e64 s[4:5], 1.0, v[20:21]
	;; [unrolled: 2-line block ×3, first 2 shown]
	s_and_b64 s[8:9], s[8:9], s[4:5]
	v_cmp_le_f64_e64 s[4:5], 0, v[100:101]
	s_and_b64 s[8:9], s[4:5], s[8:9]
	v_cmp_le_f64_e64 s[4:5], 0, v[16:17]
	;; [unrolled: 2-line block ×3, first 2 shown]
	s_and_b64 s[8:9], s[8:9], s[4:5]
	v_cmp_gt_f64_e64 s[4:5], 1.0, v[100:101]
	s_and_b64 s[8:9], s[4:5], s[8:9]
	v_cmp_gt_f64_e64 s[4:5], 1.0, v[16:17]
	;; [unrolled: 2-line block ×3, first 2 shown]
	s_and_b64 s[4:5], s[8:9], s[4:5]
	v_mov_b32_e32 v18, 8
	s_and_saveexec_b64 s[14:15], s[4:5]
	s_cbranch_execz .LBB1_231
; %bb.228:
	v_cmp_nge_f64_e64 s[4:5], v[98:99], v[34:35]
	v_cmp_nge_f64_e64 s[8:9], v[12:13], v[34:35]
	s_or_b64 s[8:9], s[4:5], s[8:9]
	v_cmp_nge_f64_e64 s[4:5], v[62:63], v[34:35]
	s_or_b64 s[4:5], s[8:9], s[4:5]
	v_mov_b32_e32 v18, 4
	s_and_saveexec_b64 s[16:17], s[4:5]
	s_cbranch_execz .LBB1_230
; %bb.229:
	v_cmp_le_f64_e64 s[4:5], 0, v[98:99]
	v_cmp_le_f64_e64 s[8:9], 0, v[12:13]
	s_and_b64 s[8:9], s[4:5], s[8:9]
	v_cmp_le_f64_e64 s[4:5], 0, v[62:63]
	s_and_b64 s[8:9], s[8:9], s[4:5]
	v_cmp_lt_f64_e64 s[4:5], v[98:99], v[34:35]
	s_and_b64 s[8:9], s[4:5], s[8:9]
	v_cmp_lt_f64_e64 s[4:5], v[12:13], v[34:35]
	s_and_b64 s[8:9], s[8:9], s[4:5]
	v_cmp_lt_f64_e64 s[4:5], v[62:63], v[34:35]
	v_mov_b32_e32 v18, 0
	v_mov_b32_e32 v19, 8
	s_and_b64 s[4:5], s[8:9], s[4:5]
	v_cndmask_b32_e64 v18, v19, v18, s[4:5]
.LBB1_230:
	s_or_b64 exec, exec, s[16:17]
.LBB1_231:
	s_or_b64 exec, exec, s[14:15]
	buffer_load_dword v19, v18, s[0:3], 0 offen
	s_waitcnt vmcnt(0)
	v_or_b32_e32 v19, 0x400000, v19
	buffer_store_dword v19, v18, s[0:3], 0 offen
.LBB1_232:
	s_or_b64 exec, exec, s[12:13]
	s_and_b64 s[4:5], s[10:11], s[6:7]
	s_and_b64 s[4:5], s[4:5], vcc
	s_xor_b64 s[4:5], s[4:5], -1
	s_and_saveexec_b64 s[6:7], s[4:5]
	s_cbranch_execz .LBB1_242
; %bb.233:
	v_cmp_nle_f64_e32 vcc, 1.0, v[72:73]
	v_cmp_nle_f64_e64 s[4:5], 1.0, v[20:21]
	s_or_b64 s[4:5], vcc, s[4:5]
	v_cmp_nle_f64_e32 vcc, 1.0, v[48:49]
	s_or_b64 s[4:5], s[4:5], vcc
	s_and_b64 exec, exec, s[4:5]
	s_cbranch_execz .LBB1_242
; %bb.234:
	v_cmp_ngt_f64_e32 vcc, 0, v[70:71]
	v_cmp_ngt_f64_e64 s[4:5], 0, v[16:17]
	s_or_b64 s[4:5], vcc, s[4:5]
	v_cmp_ngt_f64_e32 vcc, 0, v[46:47]
	s_or_b64 s[4:5], s[4:5], vcc
	s_and_b64 exec, exec, s[4:5]
	s_cbranch_execz .LBB1_242
; %bb.235:
	v_cmp_nle_f64_e32 vcc, 1.0, v[70:71]
	v_cmp_nle_f64_e64 s[4:5], 1.0, v[16:17]
	s_or_b64 s[4:5], vcc, s[4:5]
	v_cmp_nle_f64_e32 vcc, 1.0, v[46:47]
	s_or_b64 s[4:5], s[4:5], vcc
	s_and_b64 exec, exec, s[4:5]
	s_cbranch_execz .LBB1_242
; %bb.236:
	v_cmp_ngt_f64_e32 vcc, 0, v[62:63]
	v_cmp_ngt_f64_e64 s[4:5], 0, v[12:13]
	s_or_b64 s[4:5], vcc, s[4:5]
	v_cmp_ngt_f64_e32 vcc, 0, v[44:45]
	s_or_b64 s[4:5], s[4:5], vcc
	s_and_b64 exec, exec, s[4:5]
	s_cbranch_execz .LBB1_242
; %bb.237:
	v_cmp_le_f64_e32 vcc, 0, v[72:73]
	v_cmp_le_f64_e64 s[4:5], 0, v[20:21]
	s_and_b64 s[4:5], vcc, s[4:5]
	v_cmp_le_f64_e32 vcc, 0, v[48:49]
	s_and_b64 s[4:5], s[4:5], vcc
	v_cmp_gt_f64_e32 vcc, 1.0, v[72:73]
	s_and_b64 s[4:5], vcc, s[4:5]
	v_cmp_gt_f64_e32 vcc, 1.0, v[20:21]
	s_and_b64 s[4:5], s[4:5], vcc
	v_cmp_gt_f64_e32 vcc, 1.0, v[48:49]
	s_and_b64 s[4:5], s[4:5], vcc
	v_cmp_le_f64_e32 vcc, 0, v[70:71]
	s_and_b64 s[4:5], vcc, s[4:5]
	v_cmp_le_f64_e32 vcc, 0, v[16:17]
	s_and_b64 s[4:5], s[4:5], vcc
	v_cmp_le_f64_e32 vcc, 0, v[46:47]
	s_and_b64 s[4:5], s[4:5], vcc
	v_cmp_gt_f64_e32 vcc, 1.0, v[70:71]
	s_and_b64 s[4:5], vcc, s[4:5]
	v_cmp_gt_f64_e32 vcc, 1.0, v[16:17]
	s_and_b64 s[4:5], s[4:5], vcc
	v_cmp_gt_f64_e32 vcc, 1.0, v[46:47]
	s_and_b64 s[4:5], s[4:5], vcc
	v_mov_b32_e32 v16, 8
	s_and_saveexec_b64 s[8:9], s[4:5]
	s_cbranch_execz .LBB1_241
; %bb.238:
	v_cmp_nge_f64_e32 vcc, v[62:63], v[34:35]
	v_cmp_nge_f64_e64 s[4:5], v[12:13], v[34:35]
	s_or_b64 s[4:5], vcc, s[4:5]
	v_cmp_nge_f64_e32 vcc, v[44:45], v[34:35]
	s_or_b64 s[4:5], s[4:5], vcc
	v_mov_b32_e32 v16, 4
	s_and_saveexec_b64 s[10:11], s[4:5]
	s_cbranch_execz .LBB1_240
; %bb.239:
	v_cmp_le_f64_e32 vcc, 0, v[62:63]
	v_cmp_le_f64_e64 s[4:5], 0, v[12:13]
	s_and_b64 s[4:5], vcc, s[4:5]
	v_cmp_le_f64_e32 vcc, 0, v[44:45]
	s_and_b64 s[4:5], s[4:5], vcc
	v_cmp_lt_f64_e32 vcc, v[62:63], v[34:35]
	s_and_b64 s[4:5], vcc, s[4:5]
	v_cmp_lt_f64_e32 vcc, v[12:13], v[34:35]
	s_and_b64 s[4:5], s[4:5], vcc
	v_cmp_lt_f64_e32 vcc, v[44:45], v[34:35]
	v_mov_b32_e32 v12, 0
	v_mov_b32_e32 v13, 8
	s_and_b64 vcc, s[4:5], vcc
	v_cndmask_b32_e32 v16, v13, v12, vcc
.LBB1_240:
	s_or_b64 exec, exec, s[10:11]
.LBB1_241:
	s_or_b64 exec, exec, s[8:9]
	buffer_load_dword v12, v16, s[0:3], 0 offen
	s_waitcnt vmcnt(0)
	v_or_b32_e32 v12, 0x800000, v12
	buffer_store_dword v12, v16, s[0:3], 0 offen
.LBB1_242:
	s_or_b64 exec, exec, s[6:7]
	buffer_load_dword v12, off, s[0:3], 0 offset:8
	v_mov_b32_e32 v40, 0
	s_waitcnt vmcnt(0)
	v_and_b32_e32 v13, 1, v12
	v_cmp_eq_u32_e32 vcc, 1, v13
	s_and_saveexec_b64 s[4:5], vcc
	s_cbranch_execz .LBB1_244
; %bb.243:
	v_mov_b32_e32 v13, 0
	v_mov_b32_e32 v40, 1
	buffer_store_byte v13, off, s[0:3], 0 offset:16
.LBB1_244:
	s_or_b64 exec, exec, s[4:5]
	v_and_b32_e32 v13, 2, v12
	v_cmp_ne_u32_e32 vcc, 0, v13
	s_and_saveexec_b64 s[4:5], vcc
	s_cbranch_execz .LBB1_246
; %bb.245:
	v_add_u32_e32 v13, 1, v40
	v_or_b32_e32 v16, 16, v40
	v_mov_b32_e32 v17, 1
	v_mov_b32_e32 v40, v13
	buffer_store_byte v17, v16, s[0:3], 0 offen
.LBB1_246:
	s_or_b64 exec, exec, s[4:5]
	v_and_b32_e32 v13, 4, v12
	v_cmp_ne_u32_e32 vcc, 0, v13
	s_and_saveexec_b64 s[4:5], vcc
	s_cbranch_execz .LBB1_248
; %bb.247:
	v_add_u32_e32 v13, 1, v40
	v_or_b32_e32 v16, 16, v40
	v_mov_b32_e32 v17, 2
	v_mov_b32_e32 v40, v13
	buffer_store_byte v17, v16, s[0:3], 0 offen
.LBB1_248:
	;; [unrolled: 12-line block ×4, first 2 shown]
	s_or_b64 exec, exec, s[4:5]
	v_and_b32_e32 v13, 32, v12
	v_cmp_ne_u32_e32 vcc, 0, v13
	s_and_saveexec_b64 s[4:5], vcc
	s_cbranch_execz .LBB1_254
; %bb.253:
	v_add_u32_e32 v13, 1, v40
	v_add_u32_e32 v16, 16, v40
	v_mov_b32_e32 v17, 5
	v_mov_b32_e32 v40, v13
	buffer_store_byte v17, v16, s[0:3], 0 offen
.LBB1_254:
	s_or_b64 exec, exec, s[4:5]
	v_and_b32_e32 v13, 64, v12
	v_cmp_ne_u32_e32 vcc, 0, v13
	s_and_saveexec_b64 s[4:5], vcc
	s_cbranch_execz .LBB1_256
; %bb.255:
	v_add_u32_e32 v13, 1, v40
	v_add_u32_e32 v16, 16, v40
	v_mov_b32_e32 v17, 6
	v_mov_b32_e32 v40, v13
	buffer_store_byte v17, v16, s[0:3], 0 offen
.LBB1_256:
	;; [unrolled: 12-line block ×19, first 2 shown]
	s_or_b64 exec, exec, s[4:5]
	v_and_b32_e32 v12, 63, v122
	v_mov_b32_e32 v66, 0xf0
	v_mul_u32_u24_e32 v58, 0xf8, v12
	v_pk_mov_b32 v[12:13], 0, 0
	v_add_u32_e32 v59, 40, v66
	v_add_u32_e32 v60, 16, v66
	;; [unrolled: 1-line block ×3, first 2 shown]
	v_or_b32_e32 v62, 8, v66
	v_add_u32_e32 v63, 24, v66
	v_add_u32_e32 v64, 32, v66
	;; [unrolled: 1-line block ×3, first 2 shown]
	v_cmp_ne_u32_e32 vcc, 0, v40
	s_mov_b64 s[8:9], 0
	v_mul_f64 v[36:37], v[14:15], 0.5
	v_mul_f64 v[38:39], v[10:11], 0.5
	v_pk_mov_b32 v[10:11], v[12:13], v[12:13] op_sel:[0,1]
	v_pk_mov_b32 v[16:17], v[12:13], v[12:13] op_sel:[0,1]
	;; [unrolled: 1-line block ×3, first 2 shown]
	s_and_saveexec_b64 s[10:11], vcc
	s_cbranch_execz .LBB1_454
; %bb.291:
	v_mov_b32_e32 v42, 0
	v_pk_mov_b32 v[14:15], 0, 0
	s_mov_b32 s12, 0
	s_mov_b32 s14, 0x55555555
	v_mov_b32_e32 v41, v42
	v_add_u32_e32 v67, 0xa0, v58
	v_add_u32_e32 v68, 0x50, v58
	;; [unrolled: 1-line block ×10, first 2 shown]
	v_add_u32_e32 v77, -8, v58
	v_add_u32_e32 v78, 16, v58
	v_mov_b32_e32 v79, 16
	s_mov_b32 s13, 0x3fd00000
	s_mov_b32 s15, 0x3fd55555
	v_mov_b32_e32 v80, 0x3ff00000
	v_pk_mov_b32 v[16:17], v[14:15], v[14:15] op_sel:[0,1]
	v_pk_mov_b32 v[10:11], v[14:15], v[14:15] op_sel:[0,1]
	;; [unrolled: 1-line block ×3, first 2 shown]
	s_mov_b64 s[16:17], 0
	s_branch .LBB1_293
.LBB1_292:                              ;   in Loop: Header=BB1_293 Depth=1
	s_or_b64 exec, exec, s[4:5]
	s_add_u32 s16, s16, 1
	s_addc_u32 s17, s17, 0
	v_cmp_eq_u64_e32 vcc, s[16:17], v[40:41]
	s_or_b64 s[8:9], vcc, s[8:9]
	s_andn2_b64 exec, exec, s[8:9]
	s_cbranch_execz .LBB1_453
.LBB1_293:                              ; =>This Loop Header: Depth=1
                                        ;     Child Loop BB1_354 Depth 2
                                        ;     Child Loop BB1_368 Depth 2
	;; [unrolled: 1-line block ×11, first 2 shown]
	v_add_u32_e32 v18, s16, v79
	buffer_load_ubyte v21, v18, s[0:3], 0 offen
                                        ; implicit-def: $vgpr23
                                        ; implicit-def: $vgpr18
                                        ; implicit-def: $vgpr22
                                        ; implicit-def: $vgpr19
                                        ; implicit-def: $vgpr24
                                        ; implicit-def: $vgpr26
                                        ; implicit-def: $vgpr25
	s_waitcnt vmcnt(0)
	v_lshrrev_b32_e32 v20, 2, v21
	v_cmp_lt_i32_e32 vcc, 1, v20
	s_and_saveexec_b64 s[4:5], vcc
	s_xor_b64 s[4:5], exec, s[4:5]
	s_cbranch_execz .LBB1_307
; %bb.294:                              ;   in Loop: Header=BB1_293 Depth=1
	v_cmp_lt_i32_e32 vcc, 2, v20
                                        ; implicit-def: $vgpr23
                                        ; implicit-def: $vgpr18
                                        ; implicit-def: $vgpr22
                                        ; implicit-def: $vgpr19
                                        ; implicit-def: $vgpr24
                                        ; implicit-def: $vgpr26
                                        ; implicit-def: $vgpr25
	s_and_saveexec_b64 s[6:7], vcc
	s_xor_b64 s[6:7], exec, s[6:7]
	s_cbranch_execz .LBB1_304
; %bb.295:                              ;   in Loop: Header=BB1_293 Depth=1
	v_cmp_lt_i32_e32 vcc, 3, v20
                                        ; implicit-def: $vgpr23
                                        ; implicit-def: $vgpr18
                                        ; implicit-def: $vgpr22
                                        ; implicit-def: $vgpr19
                                        ; implicit-def: $vgpr24
                                        ; implicit-def: $vgpr26
                                        ; implicit-def: $vgpr25
	s_and_saveexec_b64 s[18:19], vcc
	s_xor_b64 s[18:19], exec, s[18:19]
	s_cbranch_execz .LBB1_301
; %bb.296:                              ;   in Loop: Header=BB1_293 Depth=1
	v_cmp_ne_u32_e32 vcc, 4, v20
                                        ; implicit-def: $sgpr22
                                        ; implicit-def: $sgpr23
                                        ; implicit-def: $sgpr24
                                        ; implicit-def: $sgpr25
	s_and_saveexec_b64 s[20:21], vcc
	s_xor_b64 s[20:21], exec, s[20:21]
; %bb.297:                              ;   in Loop: Header=BB1_293 Depth=1
	s_mov_b32 s25, 4
	s_mov_b32 s24, 6
	;; [unrolled: 1-line block ×4, first 2 shown]
; %bb.298:                              ;   in Loop: Header=BB1_293 Depth=1
	s_or_saveexec_b64 s[20:21], s[20:21]
	v_mov_b32_e32 v23, s22
	v_mov_b32_e32 v22, s23
	;; [unrolled: 1-line block ×8, first 2 shown]
	s_xor_b64 exec, exec, s[20:21]
; %bb.299:                              ;   in Loop: Header=BB1_293 Depth=1
	v_mov_b32_e32 v25, 0xf0
	v_mov_b32_e32 v23, 2
	;; [unrolled: 1-line block ×8, first 2 shown]
; %bb.300:                              ;   in Loop: Header=BB1_293 Depth=1
	s_or_b64 exec, exec, s[20:21]
.LBB1_301:                              ;   in Loop: Header=BB1_293 Depth=1
	s_andn2_saveexec_b64 s[18:19], s[18:19]
; %bb.302:                              ;   in Loop: Header=BB1_293 Depth=1
	v_mov_b32_e32 v23, 6
	v_mov_b32_e32 v22, 7
	;; [unrolled: 1-line block ×8, first 2 shown]
; %bb.303:                              ;   in Loop: Header=BB1_293 Depth=1
	s_or_b64 exec, exec, s[18:19]
.LBB1_304:                              ;   in Loop: Header=BB1_293 Depth=1
	s_andn2_saveexec_b64 s[6:7], s[6:7]
; %bb.305:                              ;   in Loop: Header=BB1_293 Depth=1
	v_mov_b32_e32 v25, 0xf0
	v_mov_b32_e32 v23, 1
	v_mov_b32_e32 v22, 5
	v_mov_b32_e32 v24, 4
	v_mov_b32_e32 v20, 0
	v_mov_b32_e32 v18, v62
	v_mov_b32_e32 v19, v59
	v_mov_b32_e32 v26, v64
; %bb.306:                              ;   in Loop: Header=BB1_293 Depth=1
	s_or_b64 exec, exec, s[6:7]
.LBB1_307:                              ;   in Loop: Header=BB1_293 Depth=1
	s_andn2_saveexec_b64 s[4:5], s[4:5]
	s_cbranch_execz .LBB1_311
; %bb.308:                              ;   in Loop: Header=BB1_293 Depth=1
	v_cmp_lt_i32_e32 vcc, 0, v20
	v_mov_b32_e32 v25, 0xf0
	v_mov_b32_e32 v23, 4
	;; [unrolled: 1-line block ×7, first 2 shown]
	s_and_saveexec_b64 s[6:7], vcc
; %bb.309:                              ;   in Loop: Header=BB1_293 Depth=1
	v_mov_b32_e32 v23, 3
	v_mov_b32_e32 v22, 7
	;; [unrolled: 1-line block ×8, first 2 shown]
; %bb.310:                              ;   in Loop: Header=BB1_293 Depth=1
	s_or_b64 exec, exec, s[6:7]
.LBB1_311:                              ;   in Loop: Header=BB1_293 Depth=1
	s_or_b64 exec, exec, s[4:5]
	buffer_load_dword v29, v25, s[0:3], 0 offen offset:4
	buffer_load_dword v28, v25, s[0:3], 0 offen
	buffer_load_dword v45, v26, s[0:3], 0 offen offset:4
	buffer_load_dword v44, v26, s[0:3], 0 offen
	;; [unrolled: 2-line block ×3, first 2 shown]
	buffer_load_dword v46, v19, s[0:3], 0 offen
	buffer_load_dword v49, v18, s[0:3], 0 offen offset:4
	v_lshl_add_u32 v25, v20, 3, v66
	v_lshl_add_u32 v43, v24, 3, v66
	buffer_load_dword v18, v25, s[0:3], 0 offen offset:64
	buffer_load_dword v19, v25, s[0:3], 0 offen offset:68
	;; [unrolled: 1-line block ×3, first 2 shown]
	v_lshl_add_u32 v81, v22, 3, v66
	buffer_load_dword v50, v81, s[0:3], 0 offen offset:64
	buffer_load_dword v51, v81, s[0:3], 0 offen offset:68
	v_lshl_add_u32 v86, v23, 3, v66
	buffer_load_dword v53, v86, s[0:3], 0 offen offset:68
	buffer_load_dword v55, v43, s[0:3], 0 offen offset:132
	;; [unrolled: 1-line block ×11, first 2 shown]
	v_and_b32_e32 v25, 3, v21
	v_cmp_lt_i32_e32 vcc, 1, v25
                                        ; implicit-def: $vgpr21
	s_waitcnt vmcnt(20)
	v_add_f64 v[28:29], v[28:29], v[44:45]
	s_waitcnt vmcnt(17)
	v_add_f64 v[28:29], v[28:29], v[46:47]
	;; [unrolled: 2-line block ×3, first 2 shown]
	v_fma_f64 v[28:29], v[28:29], s[12:13], -v[0:1]
	v_mul_f64 v[28:29], v[32:33], v[28:29]
	s_waitcnt vmcnt(7)
	v_add_f64 v[18:19], v[18:19], v[26:27]
	s_waitcnt vmcnt(5)
	v_add_f64 v[26:27], v[56:57], v[54:55]
	v_add_f64 v[18:19], v[18:19], v[50:51]
	s_waitcnt vmcnt(1)
	v_add_f64 v[18:19], v[18:19], v[52:53]
	v_add_f64 v[26:27], v[26:27], v[84:85]
	v_fma_f64 v[18:19], v[18:19], s[12:13], -v[8:9]
	s_waitcnt vmcnt(0)
	v_add_f64 v[26:27], v[26:27], v[82:83]
	v_mul_f64 v[18:19], v[6:7], v[18:19]
	v_fma_f64 v[26:27], v[26:27], s[12:13], -v[4:5]
	ds_write2_b64 v58, v[28:29], v[18:19] offset0:1 offset1:11
	ds_write_b64 v58, v[26:27] offset:168
	s_and_saveexec_b64 s[4:5], vcc
	s_xor_b64 s[4:5], exec, s[4:5]
	s_cbranch_execz .LBB1_317
; %bb.312:                              ;   in Loop: Header=BB1_293 Depth=1
	v_cmp_lt_i32_e32 vcc, 2, v25
	s_and_saveexec_b64 s[6:7], vcc
	s_xor_b64 s[6:7], exec, s[6:7]
; %bb.313:                              ;   in Loop: Header=BB1_293 Depth=1
                                        ; implicit-def: $vgpr22
; %bb.314:                              ;   in Loop: Header=BB1_293 Depth=1
	s_or_saveexec_b64 s[6:7], s[6:7]
	v_mov_b32_e32 v21, v23
	s_xor_b64 exec, exec, s[6:7]
; %bb.315:                              ;   in Loop: Header=BB1_293 Depth=1
	v_mov_b32_e32 v21, v22
	v_mov_b32_e32 v20, v23
; %bb.316:                              ;   in Loop: Header=BB1_293 Depth=1
	s_or_b64 exec, exec, s[6:7]
                                        ; implicit-def: $vgpr24
                                        ; implicit-def: $vgpr22
                                        ; implicit-def: $vgpr25
.LBB1_317:                              ;   in Loop: Header=BB1_293 Depth=1
	s_andn2_saveexec_b64 s[4:5], s[4:5]
	s_cbranch_execz .LBB1_321
; %bb.318:                              ;   in Loop: Header=BB1_293 Depth=1
	v_cmp_eq_u32_e32 vcc, 1, v25
	s_and_saveexec_b64 s[6:7], vcc
; %bb.319:                              ;   in Loop: Header=BB1_293 Depth=1
	v_mov_b32_e32 v20, v24
	v_mov_b32_e32 v24, v22
; %bb.320:                              ;   in Loop: Header=BB1_293 Depth=1
	s_or_b64 exec, exec, s[6:7]
	v_mov_b32_e32 v21, v20
	v_mov_b32_e32 v20, v24
.LBB1_321:                              ;   in Loop: Header=BB1_293 Depth=1
	s_or_b64 exec, exec, s[4:5]
	v_lshl_add_u32 v43, v21, 3, v66
	buffer_load_dword v22, v43, s[0:3], 0 offen
	buffer_load_dword v23, v43, s[0:3], 0 offen offset:4
	v_lshl_add_u32 v46, v20, 3, v66
	buffer_load_dword v20, v46, s[0:3], 0 offen
	buffer_load_dword v21, v46, s[0:3], 0 offen offset:4
	buffer_load_dword v24, v43, s[0:3], 0 offen offset:128
	;; [unrolled: 1-line block ×9, first 2 shown]
	s_mov_b64 s[4:5], 0
                                        ; implicit-def: $sgpr20
                                        ; implicit-def: $sgpr21
                                        ; implicit-def: $sgpr18
	s_waitcnt vmcnt(8)
	v_add_f64 v[20:21], v[20:21], -v[0:1]
	s_waitcnt vmcnt(5)
	v_add_f64 v[26:27], v[26:27], -v[8:9]
	;; [unrolled: 2-line block ×3, first 2 shown]
	v_add_f64 v[46:47], v[22:23], -v[0:1]
	s_waitcnt vmcnt(1)
	v_add_f64 v[22:23], v[24:25], -v[4:5]
	s_waitcnt vmcnt(0)
	v_add_f64 v[24:25], v[28:29], -v[4:5]
	v_mul_f64 v[28:29], v[32:33], v[46:47]
	v_mul_f64 v[46:47], v[6:7], v[26:27]
	;; [unrolled: 1-line block ×4, first 2 shown]
	v_cmp_ngt_f64_e32 vcc, 1.0, v[46:47]
	ds_write2_b64 v58, v[22:23], v[24:25] offset0:20 offset1:22
	ds_write2_b64 v58, v[28:29], v[44:45] offset1:2
	ds_write2_b64 v58, v[46:47], v[20:21] offset0:10 offset1:12
                                        ; implicit-def: $vgpr26_vgpr27
	s_and_saveexec_b64 s[6:7], vcc
	s_xor_b64 s[6:7], exec, s[6:7]
	s_cbranch_execz .LBB1_325
; %bb.322:                              ;   in Loop: Header=BB1_293 Depth=1
	v_cmp_gt_f64_e32 vcc, 1.0, v[20:21]
                                        ; implicit-def: $sgpr20
                                        ; implicit-def: $sgpr21
                                        ; implicit-def: $vgpr26_vgpr27
	s_and_saveexec_b64 s[18:19], vcc
	s_xor_b64 s[18:19], exec, s[18:19]
	s_cbranch_execz .LBB1_324
; %bb.323:                              ;   in Loop: Header=BB1_293 Depth=1
	v_add_f64 v[26:27], v[46:47], -v[20:21]
	v_add_f64 v[46:47], -v[20:21], 1.0
	v_div_scale_f64 v[48:49], s[20:21], v[26:27], v[26:27], v[46:47]
	v_rcp_f64_e32 v[50:51], v[48:49]
	v_add_f64 v[28:29], v[28:29], -v[44:45]
	s_mov_b64 s[4:5], exec
	v_mov_b32_e32 v43, v80
	v_fma_f64 v[52:53], -v[48:49], v[50:51], 1.0
	v_fmac_f64_e32 v[50:51], v[50:51], v[52:53]
	v_fma_f64 v[52:53], -v[48:49], v[50:51], 1.0
	v_fmac_f64_e32 v[50:51], v[50:51], v[52:53]
	v_div_scale_f64 v[52:53], vcc, v[46:47], v[26:27], v[46:47]
	v_mul_f64 v[54:55], v[52:53], v[50:51]
	v_fma_f64 v[48:49], -v[48:49], v[54:55], v[52:53]
	s_mov_b32 s21, 9
	s_nop 0
	v_div_fmas_f64 v[48:49], v[48:49], v[50:51], v[54:55]
	v_div_fixup_f64 v[26:27], v[48:49], v[26:27], v[46:47]
	v_fmac_f64_e32 v[44:45], v[28:29], v[26:27]
	s_mov_b32 s20, 8
	ds_write2_b64 v58, v[44:45], v[42:43] offset0:9 offset1:19
.LBB1_324:                              ;   in Loop: Header=BB1_293 Depth=1
	s_or_b64 exec, exec, s[18:19]
	s_mov_b32 s18, 9
	s_and_b64 s[4:5], s[4:5], exec
                                        ; implicit-def: $vgpr28_vgpr29
                                        ; implicit-def: $vgpr46_vgpr47
                                        ; implicit-def: $vgpr44_vgpr45
.LBB1_325:                              ;   in Loop: Header=BB1_293 Depth=1
	s_or_saveexec_b64 s[6:7], s[6:7]
	v_mov_b32_e32 v43, s20
	v_mov_b32_e32 v49, s21
	;; [unrolled: 1-line block ×3, first 2 shown]
	s_xor_b64 exec, exec, s[6:7]
	s_cbranch_execz .LBB1_329
; %bb.326:                              ;   in Loop: Header=BB1_293 Depth=1
	v_cmp_le_f64_e32 vcc, 1.0, v[20:21]
	s_mov_b64 s[20:21], s[4:5]
	ds_write2_b64 v58, v[28:29], v[46:47] offset0:9 offset1:19
	ds_write_b64 v58, v[22:23] offset:232
                                        ; implicit-def: $sgpr23
                                        ; implicit-def: $sgpr22
                                        ; implicit-def: $vgpr26_vgpr27
	s_and_saveexec_b64 s[18:19], vcc
	s_cbranch_execz .LBB1_328
; %bb.327:                              ;   in Loop: Header=BB1_293 Depth=1
	v_add_f64 v[26:27], v[20:21], -v[46:47]
	v_add_f64 v[46:47], -v[46:47], 1.0
	v_div_scale_f64 v[48:49], s[20:21], v[26:27], v[26:27], v[46:47]
	v_rcp_f64_e32 v[50:51], v[48:49]
	v_add_f64 v[44:45], v[44:45], -v[28:29]
	v_mov_b32_e32 v43, v80
	s_mov_b32 s22, 8
	v_fma_f64 v[52:53], -v[48:49], v[50:51], 1.0
	v_fmac_f64_e32 v[50:51], v[50:51], v[52:53]
	v_fma_f64 v[52:53], -v[48:49], v[50:51], 1.0
	v_fmac_f64_e32 v[50:51], v[50:51], v[52:53]
	v_div_scale_f64 v[52:53], vcc, v[46:47], v[26:27], v[46:47]
	v_mul_f64 v[54:55], v[52:53], v[50:51]
	v_fma_f64 v[48:49], -v[48:49], v[54:55], v[52:53]
	s_mov_b32 s23, 7
	s_nop 0
	v_div_fmas_f64 v[48:49], v[48:49], v[50:51], v[54:55]
	v_div_fixup_f64 v[26:27], v[48:49], v[26:27], v[46:47]
	v_fmac_f64_e32 v[28:29], v[44:45], v[26:27]
	s_or_b64 s[20:21], s[4:5], exec
	ds_write2_b64 v58, v[28:29], v[42:43] offset0:8 offset1:18
.LBB1_328:                              ;   in Loop: Header=BB1_293 Depth=1
	s_or_b64 exec, exec, s[18:19]
	v_pk_mov_b32 v[28:29], v[24:25], v[24:25] op_sel:[0,1]
	s_andn2_b64 s[4:5], s[4:5], exec
	s_and_b64 s[18:19], s[20:21], exec
	v_mov_b32_e32 v43, s23
	v_mov_b32_e32 v49, s22
	;; [unrolled: 1-line block ×3, first 2 shown]
	s_or_b64 s[4:5], s[4:5], s[18:19]
	v_pk_mov_b32 v[24:25], v[22:23], v[22:23] op_sel:[0,1]
	v_pk_mov_b32 v[22:23], v[28:29], v[28:29] op_sel:[0,1]
.LBB1_329:                              ;   in Loop: Header=BB1_293 Depth=1
	s_or_b64 exec, exec, s[6:7]
	s_and_saveexec_b64 s[6:7], s[4:5]
	s_cbranch_execz .LBB1_331
; %bb.330:                              ;   in Loop: Header=BB1_293 Depth=1
	v_add_f64 v[22:23], v[22:23], -v[24:25]
	v_fmac_f64_e32 v[24:25], v[26:27], v[22:23]
	v_lshl_add_u32 v22, v49, 3, v67
	v_mov_b32_e32 v48, v43
	ds_write_b64 v22, v[24:25]
.LBB1_331:                              ;   in Loop: Header=BB1_293 Depth=1
	s_or_b64 exec, exec, s[6:7]
	v_cmp_ngt_f64_e32 vcc, 1.0, v[20:21]
	s_mov_b64 s[4:5], 0
                                        ; implicit-def: $sgpr21
                                        ; implicit-def: $sgpr20
                                        ; implicit-def: $vgpr27
                                        ; implicit-def: $vgpr28
                                        ; implicit-def: $vgpr29
                                        ; implicit-def: $vgpr26
                                        ; implicit-def: $vgpr24_vgpr25
                                        ; implicit-def: $vgpr22_vgpr23
	s_and_saveexec_b64 s[6:7], vcc
	s_xor_b64 s[6:7], exec, s[6:7]
	s_cbranch_execz .LBB1_335
; %bb.332:                              ;   in Loop: Header=BB1_293 Depth=1
	v_cmp_gt_f64_e32 vcc, 1.0, v[18:19]
                                        ; implicit-def: $sgpr21
                                        ; implicit-def: $sgpr20
                                        ; implicit-def: $vgpr24_vgpr25
	s_and_saveexec_b64 s[18:19], vcc
; %bb.333:                              ;   in Loop: Header=BB1_293 Depth=1
	s_mov_b64 s[4:5], exec
	v_add_f64 v[24:25], v[20:21], -v[18:19]
	s_mov_b32 s20, 2
	s_mov_b32 s21, -1
; %bb.334:                              ;   in Loop: Header=BB1_293 Depth=1
	s_or_b64 exec, exec, s[18:19]
	s_and_b64 s[4:5], s[4:5], exec
	v_mov_b32_e32 v27, v70
	v_mov_b32_e32 v28, v71
	;; [unrolled: 1-line block ×4, first 2 shown]
	v_pk_mov_b32 v[22:23], v[18:19], v[18:19] op_sel:[0,1]
                                        ; implicit-def: $vgpr20_vgpr21
.LBB1_335:                              ;   in Loop: Header=BB1_293 Depth=1
	s_or_saveexec_b64 s[6:7], s[6:7]
	v_mov_b32_e32 v44, s21
	v_mov_b32_e32 v45, s20
	s_xor_b64 exec, exec, s[6:7]
	s_cbranch_execz .LBB1_339
; %bb.336:                              ;   in Loop: Header=BB1_293 Depth=1
	v_lshl_add_u32 v22, v48, 3, v58
	ds_write_b64 v22, v[20:21] offset:80
	ds_read_b64 v[18:19], v58 offset:16
	v_add_u32_e32 v26, -1, v48
	s_mov_b64 s[18:19], s[4:5]
                                        ; implicit-def: $sgpr23
                                        ; implicit-def: $sgpr22
                                        ; implicit-def: $vgpr24_vgpr25
	s_waitcnt lgkmcnt(0)
	ds_write_b64 v22, v[18:19]
	ds_read_b64 v[18:19], v58 offset:176
	s_waitcnt lgkmcnt(0)
	ds_write_b64 v22, v[18:19] offset:160
	ds_read_b64 v[22:23], v58 offset:88
                                        ; implicit-def: $vgpr18_vgpr19
	s_waitcnt lgkmcnt(0)
	v_cmp_le_f64_e32 vcc, 1.0, v[22:23]
	s_and_saveexec_b64 s[20:21], vcc
	s_cbranch_execz .LBB1_338
; %bb.337:                              ;   in Loop: Header=BB1_293 Depth=1
	ds_read_b64 v[18:19], v58 offset:96
	s_mov_b32 s22, 1
	s_mov_b32 s23, -2
	s_or_b64 s[18:19], s[4:5], exec
	s_waitcnt lgkmcnt(0)
	v_add_f64 v[24:25], v[22:23], -v[18:19]
                                        ; implicit-def: $vgpr22_vgpr23
.LBB1_338:                              ;   in Loop: Header=BB1_293 Depth=1
	s_or_b64 exec, exec, s[20:21]
	s_andn2_b64 s[4:5], s[4:5], exec
	s_and_b64 s[18:19], s[18:19], exec
	v_mov_b32_e32 v44, s23
	v_mov_b32_e32 v45, s22
	s_or_b64 s[4:5], s[4:5], s[18:19]
	v_mov_b32_e32 v27, v72
	v_mov_b32_e32 v28, v69
	;; [unrolled: 1-line block ×3, first 2 shown]
.LBB1_339:                              ;   in Loop: Header=BB1_293 Depth=1
	s_or_b64 exec, exec, s[6:7]
	s_and_saveexec_b64 s[6:7], s[4:5]
	s_cbranch_execz .LBB1_341
; %bb.340:                              ;   in Loop: Header=BB1_293 Depth=1
	v_add_f64 v[18:19], -v[18:19], 1.0
	v_div_scale_f64 v[20:21], s[4:5], v[24:25], v[24:25], v[18:19]
	v_rcp_f64_e32 v[22:23], v[20:21]
	v_lshl_add_u32 v26, v26, 3, v58
	v_mov_b32_e32 v43, v80
	ds_write_b64 v26, v[42:43] offset:80
	v_fma_f64 v[50:51], -v[20:21], v[22:23], 1.0
	v_fmac_f64_e32 v[22:23], v[22:23], v[50:51]
	v_fma_f64 v[50:51], -v[20:21], v[22:23], 1.0
	ds_read_b64 v[52:53], v29
	ds_read_b64 v[28:29], v28
	v_div_scale_f64 v[46:47], vcc, v[18:19], v[24:25], v[18:19]
	v_fmac_f64_e32 v[22:23], v[22:23], v[50:51]
	v_mul_f64 v[50:51], v[46:47], v[22:23]
	v_fma_f64 v[20:21], -v[20:21], v[50:51], v[46:47]
	s_nop 0
	v_div_fmas_f64 v[20:21], v[20:21], v[22:23], v[50:51]
	v_div_fixup_f64 v[18:19], v[20:21], v[24:25], v[18:19]
	s_waitcnt lgkmcnt(0)
	v_add_f64 v[20:21], v[28:29], -v[52:53]
	v_fmac_f64_e32 v[52:53], v[18:19], v[20:21]
	ds_write_b64 v26, v[52:53]
	v_lshl_add_u32 v22, v45, 3, v67
	ds_read_b64 v[20:21], v27
	ds_read_b64 v[22:23], v22
	s_waitcnt lgkmcnt(0)
	v_add_f64 v[22:23], v[22:23], -v[20:21]
	v_fmac_f64_e32 v[20:21], v[18:19], v[22:23]
	ds_write_b64 v26, v[20:21] offset:160
	ds_read_b64 v[22:23], v58 offset:88
	v_add_u32_e32 v26, v44, v48
.LBB1_341:                              ;   in Loop: Header=BB1_293 Depth=1
	s_or_b64 exec, exec, s[6:7]
	s_waitcnt lgkmcnt(0)
	v_cmp_ngt_f64_e32 vcc, 1.0, v[22:23]
	s_mov_b64 s[4:5], 0
                                        ; implicit-def: $sgpr21
                                        ; implicit-def: $sgpr20
                                        ; implicit-def: $vgpr25
                                        ; implicit-def: $vgpr27
                                        ; implicit-def: $vgpr28
                                        ; implicit-def: $vgpr24
                                        ; implicit-def: $vgpr18_vgpr19
                                        ; implicit-def: $vgpr20_vgpr21
	s_and_saveexec_b64 s[6:7], vcc
	s_xor_b64 s[6:7], exec, s[6:7]
	s_cbranch_execz .LBB1_345
; %bb.342:                              ;   in Loop: Header=BB1_293 Depth=1
	ds_read_b64 v[20:21], v68
                                        ; implicit-def: $sgpr21
                                        ; implicit-def: $sgpr20
                                        ; implicit-def: $vgpr18_vgpr19
	s_waitcnt lgkmcnt(0)
	v_cmp_gt_f64_e32 vcc, 1.0, v[20:21]
	s_and_saveexec_b64 s[18:19], vcc
; %bb.343:                              ;   in Loop: Header=BB1_293 Depth=1
	s_mov_b64 s[4:5], exec
	v_add_f64 v[18:19], v[22:23], -v[20:21]
	s_mov_b32 s20, 1
	s_mov_b32 s21, -1
; %bb.344:                              ;   in Loop: Header=BB1_293 Depth=1
	s_or_b64 exec, exec, s[18:19]
	s_and_b64 s[4:5], s[4:5], exec
	v_mov_b32_e32 v25, v67
	v_mov_b32_e32 v27, v69
	;; [unrolled: 1-line block ×4, first 2 shown]
                                        ; implicit-def: $vgpr22_vgpr23
.LBB1_345:                              ;   in Loop: Header=BB1_293 Depth=1
	s_or_saveexec_b64 s[6:7], s[6:7]
	v_mov_b32_e32 v29, s21
	v_mov_b32_e32 v44, s20
	s_xor_b64 exec, exec, s[6:7]
	s_cbranch_execz .LBB1_349
; %bb.346:                              ;   in Loop: Header=BB1_293 Depth=1
	v_lshl_add_u32 v20, v26, 3, v58
	ds_write_b64 v20, v[22:23] offset:80
	ds_read_b64 v[18:19], v58 offset:8
	v_add_u32_e32 v24, -1, v26
	s_mov_b64 s[18:19], s[4:5]
                                        ; implicit-def: $sgpr23
                                        ; implicit-def: $sgpr22
	s_waitcnt lgkmcnt(0)
	ds_write_b64 v20, v[18:19]
	ds_read_b64 v[18:19], v58 offset:168
	s_waitcnt lgkmcnt(0)
	ds_write_b64 v20, v[18:19] offset:160
	ds_read_b64 v[22:23], v58 offset:80
                                        ; implicit-def: $vgpr18_vgpr19
                                        ; implicit-def: $vgpr20_vgpr21
	s_waitcnt lgkmcnt(0)
	v_cmp_le_f64_e32 vcc, 1.0, v[22:23]
	s_and_saveexec_b64 s[20:21], vcc
	s_cbranch_execz .LBB1_348
; %bb.347:                              ;   in Loop: Header=BB1_293 Depth=1
	ds_read_b64 v[20:21], v58 offset:88
	s_mov_b32 s22, 0
	s_mov_b32 s23, -2
	s_or_b64 s[18:19], s[4:5], exec
	s_waitcnt lgkmcnt(0)
	v_add_f64 v[18:19], v[22:23], -v[20:21]
.LBB1_348:                              ;   in Loop: Header=BB1_293 Depth=1
	s_or_b64 exec, exec, s[20:21]
	s_andn2_b64 s[4:5], s[4:5], exec
	s_and_b64 s[18:19], s[18:19], exec
	v_mov_b32_e32 v29, s23
	v_mov_b32_e32 v44, s22
	s_or_b64 s[4:5], s[4:5], s[18:19]
	v_mov_b32_e32 v25, v70
	v_mov_b32_e32 v27, v58
	;; [unrolled: 1-line block ×3, first 2 shown]
.LBB1_349:                              ;   in Loop: Header=BB1_293 Depth=1
	s_or_b64 exec, exec, s[6:7]
	s_and_saveexec_b64 s[6:7], s[4:5]
	s_cbranch_execz .LBB1_351
; %bb.350:                              ;   in Loop: Header=BB1_293 Depth=1
	v_add_f64 v[20:21], -v[20:21], 1.0
	v_div_scale_f64 v[22:23], s[4:5], v[18:19], v[18:19], v[20:21]
	v_rcp_f64_e32 v[46:47], v[22:23]
	v_lshl_add_u32 v24, v24, 3, v58
	v_mov_b32_e32 v43, v80
	ds_write_b64 v24, v[42:43] offset:80
	v_fma_f64 v[50:51], -v[22:23], v[46:47], 1.0
	v_fmac_f64_e32 v[46:47], v[46:47], v[50:51]
	v_fma_f64 v[50:51], -v[22:23], v[46:47], 1.0
	ds_read_b64 v[52:53], v28
	ds_read_b64 v[54:55], v27
	v_div_scale_f64 v[48:49], vcc, v[20:21], v[18:19], v[20:21]
	v_fmac_f64_e32 v[46:47], v[46:47], v[50:51]
	v_mul_f64 v[50:51], v[48:49], v[46:47]
	v_fma_f64 v[22:23], -v[22:23], v[50:51], v[48:49]
	s_nop 0
	v_div_fmas_f64 v[22:23], v[22:23], v[46:47], v[50:51]
	v_div_fixup_f64 v[18:19], v[22:23], v[18:19], v[20:21]
	s_waitcnt lgkmcnt(0)
	v_add_f64 v[20:21], v[54:55], -v[52:53]
	v_fmac_f64_e32 v[52:53], v[18:19], v[20:21]
	ds_write_b64 v24, v[52:53]
	v_lshl_add_u32 v22, v44, 3, v67
	ds_read_b64 v[20:21], v25
	ds_read_b64 v[22:23], v22
	s_waitcnt lgkmcnt(0)
	v_add_f64 v[22:23], v[22:23], -v[20:21]
	v_fmac_f64_e32 v[20:21], v[18:19], v[22:23]
	ds_write_b64 v24, v[20:21] offset:160
	v_add_u32_e32 v24, v29, v26
.LBB1_351:                              ;   in Loop: Header=BB1_293 Depth=1
	s_or_b64 exec, exec, s[6:7]
	v_add_u32_e32 v18, 1, v24
	v_cmp_ne_u32_e32 vcc, 10, v18
	v_mov_b32_e32 v45, 0
	s_and_saveexec_b64 s[4:5], vcc
	s_cbranch_execz .LBB1_365
; %bb.352:                              ;   in Loop: Header=BB1_293 Depth=1
	v_add_co_u32_e32 v20, vcc, -9, v24
	v_addc_co_u32_e64 v21, s[6:7], 0, -1, vcc
	v_mov_b32_e32 v19, v42
	v_lshl_add_u32 v44, v24, 3, v58
	s_mov_b64 s[6:7], 0
	v_mov_b32_e32 v22, 9
	v_mov_b32_e32 v45, 0
	;; [unrolled: 1-line block ×3, first 2 shown]
	s_branch .LBB1_354
.LBB1_353:                              ;   in Loop: Header=BB1_354 Depth=2
	s_or_b64 exec, exec, s[20:21]
	v_add_co_u32_e32 v24, vcc, 1, v18
	v_addc_co_u32_e32 v25, vcc, 0, v19, vcc
	v_add_co_u32_e32 v20, vcc, 1, v20
	v_addc_co_u32_e32 v21, vcc, 0, v21, vcc
	v_cmp_eq_u64_e32 vcc, 0, v[20:21]
	v_add_u32_e32 v44, 8, v44
	s_or_b64 s[6:7], vcc, s[6:7]
	v_pk_mov_b32 v[22:23], v[18:19], v[18:19] op_sel:[0,1]
	v_pk_mov_b32 v[18:19], v[24:25], v[24:25] op_sel:[0,1]
	s_andn2_b64 exec, exec, s[6:7]
	s_cbranch_execz .LBB1_364
.LBB1_354:                              ;   Parent Loop BB1_293 Depth=1
                                        ; =>  This Inner Loop Header: Depth=2
	v_lshl_add_u32 v46, v22, 3, v58
	ds_read_b64 v[26:27], v46 offset:80
	s_mov_b64 s[18:19], 0
                                        ; implicit-def: $vgpr28
                                        ; implicit-def: $vgpr24_vgpr25
                                        ; implicit-def: $vgpr23
	s_waitcnt lgkmcnt(0)
	v_cmp_le_f64_e32 vcc, 0, v[26:27]
	s_and_saveexec_b64 s[20:21], vcc
	s_xor_b64 s[20:21], exec, s[20:21]
	s_cbranch_execnz .LBB1_357
; %bb.355:                              ;   in Loop: Header=BB1_354 Depth=2
	s_andn2_saveexec_b64 s[20:21], s[20:21]
	s_cbranch_execnz .LBB1_360
.LBB1_356:                              ;   in Loop: Header=BB1_354 Depth=2
	s_or_b64 exec, exec, s[20:21]
	s_and_saveexec_b64 s[20:21], s[18:19]
	s_cbranch_execz .LBB1_353
	s_branch .LBB1_363
.LBB1_357:                              ;   in Loop: Header=BB1_354 Depth=2
	v_lshl_add_u32 v29, v45, 3, v58
	ds_write_b64 v29, v[26:27] offset:80
	ds_read_b64 v[22:23], v46
	v_add_u32_e32 v28, 1, v45
                                        ; implicit-def: $vgpr24_vgpr25
	s_waitcnt lgkmcnt(0)
	ds_write_b64 v29, v[22:23]
	ds_read_b64 v[22:23], v46 offset:160
	s_waitcnt lgkmcnt(0)
	ds_write_b64 v29, v[22:23] offset:160
	ds_read_b64 v[26:27], v44 offset:88
                                        ; implicit-def: $vgpr23
                                        ; implicit-def: $vgpr22
	s_waitcnt lgkmcnt(0)
	v_cmp_gt_f64_e32 vcc, 0, v[26:27]
	s_and_saveexec_b64 s[22:23], vcc
	s_cbranch_execz .LBB1_359
; %bb.358:                              ;   in Loop: Header=BB1_354 Depth=2
	ds_read_b64 v[24:25], v46 offset:80
	v_add_f64 v[48:49], -v[26:27], 0
	v_lshl_add_u32 v45, v45, 3, v73
	v_mov_b32_e32 v43, v42
	ds_write_b64 v45, v[42:43]
	s_waitcnt lgkmcnt(1)
	v_add_f64 v[24:25], v[24:25], -v[26:27]
	v_div_scale_f64 v[26:27], s[24:25], v[24:25], v[24:25], v[48:49]
	v_rcp_f64_e32 v[50:51], v[26:27]
	v_add_u32_e32 v23, 0xa0, v46
	ds_read_b64 v[56:57], v44 offset:8
	ds_read_b64 v[46:47], v46
	v_div_scale_f64 v[52:53], vcc, v[48:49], v[24:25], v[48:49]
	v_fma_f64 v[54:55], -v[26:27], v[50:51], 1.0
	v_fmac_f64_e32 v[50:51], v[50:51], v[54:55]
	v_fma_f64 v[54:55], -v[26:27], v[50:51], 1.0
	v_fmac_f64_e32 v[50:51], v[50:51], v[54:55]
	v_mul_f64 v[54:55], v[52:53], v[50:51]
	v_fma_f64 v[26:27], -v[26:27], v[54:55], v[52:53]
	v_div_fmas_f64 v[26:27], v[26:27], v[50:51], v[54:55]
	v_div_fixup_f64 v[24:25], v[26:27], v[24:25], v[48:49]
	s_waitcnt lgkmcnt(0)
	v_add_f64 v[26:27], v[46:47], -v[56:57]
	s_mov_b64 s[18:19], exec
	v_add_u32_e32 v22, 10, v20
	v_fmac_f64_e32 v[56:57], v[24:25], v[26:27]
	ds_write_b64 v29, v[56:57] offset:8
.LBB1_359:                              ;   in Loop: Header=BB1_354 Depth=2
	s_or_b64 exec, exec, s[22:23]
	s_and_b64 s[18:19], s[18:19], exec
	v_mov_b32_e32 v45, v28
                                        ; implicit-def: $vgpr26_vgpr27
                                        ; implicit-def: $vgpr46
	s_andn2_saveexec_b64 s[20:21], s[20:21]
	s_cbranch_execz .LBB1_356
.LBB1_360:                              ;   in Loop: Header=BB1_354 Depth=2
	ds_read_b64 v[28:29], v44 offset:88
	s_mov_b64 s[24:25], s[18:19]
                                        ; implicit-def: $vgpr24_vgpr25
                                        ; implicit-def: $vgpr23
	s_waitcnt lgkmcnt(0)
	v_cmp_le_f64_e32 vcc, 0, v[28:29]
	s_and_saveexec_b64 s[22:23], vcc
	s_cbranch_execz .LBB1_362
; %bb.361:                              ;   in Loop: Header=BB1_354 Depth=2
	v_add_f64 v[24:25], v[28:29], -v[26:27]
	v_add_f64 v[26:27], -v[26:27], 0
	v_div_scale_f64 v[28:29], s[24:25], v[24:25], v[24:25], v[26:27]
	v_rcp_f64_e32 v[48:49], v[28:29]
	v_lshl_add_u32 v23, v45, 3, v58
	v_mov_b32_e32 v43, v42
	ds_write_b64 v23, v[42:43] offset:80
	v_fma_f64 v[50:51], -v[28:29], v[48:49], 1.0
	v_fmac_f64_e32 v[48:49], v[48:49], v[50:51]
	v_fma_f64 v[50:51], -v[28:29], v[48:49], 1.0
	ds_read_b64 v[46:47], v46
	ds_read_b64 v[54:55], v44 offset:8
	v_fmac_f64_e32 v[48:49], v[48:49], v[50:51]
	v_div_scale_f64 v[50:51], vcc, v[26:27], v[24:25], v[26:27]
	v_mul_f64 v[52:53], v[50:51], v[48:49]
	v_fma_f64 v[28:29], -v[28:29], v[52:53], v[50:51]
	s_or_b64 s[24:25], s[18:19], exec
	s_nop 0
	v_div_fmas_f64 v[28:29], v[28:29], v[48:49], v[52:53]
	v_div_fixup_f64 v[24:25], v[28:29], v[24:25], v[26:27]
	s_waitcnt lgkmcnt(0)
	v_add_f64 v[26:27], v[54:55], -v[46:47]
	v_fmac_f64_e32 v[46:47], v[24:25], v[26:27]
	ds_write_b64 v23, v[46:47]
	v_add_u32_e32 v23, 0xa8, v44
.LBB1_362:                              ;   in Loop: Header=BB1_354 Depth=2
	s_or_b64 exec, exec, s[22:23]
	s_andn2_b64 s[18:19], s[18:19], exec
	s_and_b64 s[22:23], s[24:25], exec
	s_or_b64 s[18:19], s[18:19], s[22:23]
	v_mov_b32_e32 v28, v45
	s_or_b64 exec, exec, s[20:21]
	s_and_saveexec_b64 s[20:21], s[18:19]
	s_cbranch_execz .LBB1_353
.LBB1_363:                              ;   in Loop: Header=BB1_354 Depth=2
	v_lshl_add_u32 v26, v22, 3, v67
	ds_read_b64 v[22:23], v23
	ds_read_b64 v[26:27], v26
	v_lshl_add_u32 v29, v28, 3, v67
	v_add_u32_e32 v45, 1, v28
	s_waitcnt lgkmcnt(0)
	v_add_f64 v[22:23], v[22:23], -v[26:27]
	v_fmac_f64_e32 v[26:27], v[24:25], v[22:23]
	ds_write_b64 v29, v[26:27]
	s_branch .LBB1_353
.LBB1_364:                              ;   in Loop: Header=BB1_293 Depth=1
	s_or_b64 exec, exec, s[6:7]
.LBB1_365:                              ;   in Loop: Header=BB1_293 Depth=1
	s_or_b64 exec, exec, s[4:5]
	v_cmp_ne_u32_e32 vcc, 0, v45
	v_mov_b32_e32 v20, 0
	s_and_saveexec_b64 s[4:5], vcc
	s_cbranch_execz .LBB1_379
; %bb.366:                              ;   in Loop: Header=BB1_293 Depth=1
	v_add_u32_e32 v18, -1, v45
	v_ashrrev_i32_e32 v19, 31, v18
	v_add_co_u32_e32 v20, vcc, 1, v18
	v_pk_mov_b32 v[22:23], 0, 0
	v_lshl_add_u32 v44, v45, 3, v74
	v_addc_co_u32_e32 v21, vcc, 0, v19, vcc
	s_mov_b64 s[6:7], 0
	v_mov_b32_e32 v23, 9
	s_branch .LBB1_368
.LBB1_367:                              ;   in Loop: Header=BB1_368 Depth=2
	s_or_b64 exec, exec, s[20:21]
	v_add_co_u32_e32 v24, vcc, -1, v18
	v_addc_co_u32_e32 v25, vcc, -1, v19, vcc
	v_add_co_u32_e32 v20, vcc, -1, v20
	v_addc_co_u32_e32 v21, vcc, -1, v21, vcc
	v_cmp_eq_u64_e32 vcc, 0, v[20:21]
	v_pk_mov_b32 v[22:23], v[18:19], v[18:19] op_sel:[0,1]
	v_add_u32_e32 v44, -8, v44
	s_or_b64 s[6:7], vcc, s[6:7]
	v_mov_b32_e32 v23, v28
	v_pk_mov_b32 v[18:19], v[24:25], v[24:25] op_sel:[0,1]
	s_andn2_b64 exec, exec, s[6:7]
	s_cbranch_execz .LBB1_378
.LBB1_368:                              ;   Parent Loop BB1_293 Depth=1
                                        ; =>  This Inner Loop Header: Depth=2
	v_lshl_add_u32 v45, v22, 3, v58
	ds_read_b64 v[26:27], v45
	v_add_u32_e32 v43, 0xffffff60, v44
	s_mov_b64 s[18:19], 0
                                        ; implicit-def: $sgpr24
                                        ; implicit-def: $vgpr28
                                        ; implicit-def: $vgpr24_vgpr25
                                        ; implicit-def: $vgpr29
	s_waitcnt lgkmcnt(0)
	v_cmp_ngt_f64_e32 vcc, 1.0, v[26:27]
	s_and_saveexec_b64 s[20:21], vcc
	s_xor_b64 s[20:21], exec, s[20:21]
	s_cbranch_execnz .LBB1_371
; %bb.369:                              ;   in Loop: Header=BB1_368 Depth=2
	s_or_saveexec_b64 s[20:21], s[20:21]
	v_mov_b32_e32 v46, s24
	s_xor_b64 exec, exec, s[20:21]
	s_cbranch_execnz .LBB1_374
.LBB1_370:                              ;   in Loop: Header=BB1_368 Depth=2
	s_or_b64 exec, exec, s[20:21]
	s_and_saveexec_b64 s[20:21], s[18:19]
	s_cbranch_execz .LBB1_367
	s_branch .LBB1_377
.LBB1_371:                              ;   in Loop: Header=BB1_368 Depth=2
	ds_read_b64 v[28:29], v43
                                        ; implicit-def: $sgpr24
                                        ; implicit-def: $vgpr24_vgpr25
	s_waitcnt lgkmcnt(0)
	v_cmp_gt_f64_e32 vcc, 1.0, v[28:29]
	s_and_saveexec_b64 s[22:23], vcc
	s_xor_b64 s[22:23], exec, s[22:23]
	s_cbranch_execz .LBB1_373
; %bb.372:                              ;   in Loop: Header=BB1_368 Depth=2
	v_add_f64 v[24:25], v[26:27], -v[28:29]
	v_add_f64 v[26:27], -v[28:29], 1.0
	v_div_scale_f64 v[28:29], s[24:25], v[24:25], v[24:25], v[26:27]
	v_rcp_f64_e32 v[46:47], v[28:29]
	v_lshl_add_u32 v56, v23, 3, v58
	v_mov_b32_e32 v43, v80
	ds_write_b64 v56, v[42:43]
	v_fma_f64 v[48:49], -v[28:29], v[46:47], 1.0
	v_fmac_f64_e32 v[46:47], v[46:47], v[48:49]
	v_add_u32_e32 v43, 0xffffffb0, v44
	v_fma_f64 v[48:49], -v[28:29], v[46:47], 1.0
	ds_read_b64 v[52:53], v43
	ds_read_b64 v[54:55], v45 offset:80
	v_fmac_f64_e32 v[46:47], v[46:47], v[48:49]
	v_div_scale_f64 v[48:49], vcc, v[26:27], v[24:25], v[26:27]
	v_mul_f64 v[50:51], v[48:49], v[46:47]
	v_fma_f64 v[28:29], -v[28:29], v[50:51], v[48:49]
	s_mov_b64 s[18:19], exec
	s_nop 0
	v_div_fmas_f64 v[28:29], v[28:29], v[46:47], v[50:51]
	v_div_fixup_f64 v[24:25], v[28:29], v[24:25], v[26:27]
	s_waitcnt lgkmcnt(0)
	v_add_f64 v[26:27], v[54:55], -v[52:53]
	v_fmac_f64_e32 v[52:53], v[24:25], v[26:27]
	s_mov_b32 s24, -1
	ds_write_b64 v56, v[52:53] offset:80
.LBB1_373:                              ;   in Loop: Header=BB1_368 Depth=2
	s_or_b64 exec, exec, s[22:23]
	s_and_b64 s[18:19], s[18:19], exec
	v_mov_b32_e32 v28, v23
	v_mov_b32_e32 v29, v44
                                        ; implicit-def: $vgpr26_vgpr27
                                        ; implicit-def: $vgpr45
                                        ; implicit-def: $vgpr43
	s_or_saveexec_b64 s[20:21], s[20:21]
	v_mov_b32_e32 v46, s24
	s_xor_b64 exec, exec, s[20:21]
	s_cbranch_execz .LBB1_370
.LBB1_374:                              ;   in Loop: Header=BB1_368 Depth=2
	v_lshl_add_u32 v46, v23, 3, v58
	ds_write_b64 v46, v[26:27]
	ds_read_b64 v[24:25], v45 offset:80
	v_add_u32_e32 v28, -1, v23
	s_mov_b64 s[24:25], s[18:19]
                                        ; implicit-def: $sgpr26
                                        ; implicit-def: $vgpr29
                                        ; implicit-def: $vgpr22
	s_waitcnt lgkmcnt(0)
	ds_write_b64 v46, v[24:25] offset:80
	ds_read_b64 v[24:25], v45 offset:160
	s_waitcnt lgkmcnt(0)
	ds_write_b64 v46, v[24:25] offset:160
	ds_read_b64 v[26:27], v43
                                        ; implicit-def: $vgpr24_vgpr25
	s_waitcnt lgkmcnt(0)
	v_cmp_le_f64_e32 vcc, 1.0, v[26:27]
	s_and_saveexec_b64 s[22:23], vcc
	s_cbranch_execz .LBB1_376
; %bb.375:                              ;   in Loop: Header=BB1_368 Depth=2
	ds_read_b64 v[24:25], v45
	v_add_u32_e32 v22, -8, v46
	v_mov_b32_e32 v43, v80
	ds_write_b64 v22, v[42:43]
	v_add_u32_e32 v22, 0xffffffb0, v44
	s_waitcnt lgkmcnt(1)
	v_add_f64 v[26:27], v[26:27], -v[24:25]
	v_add_f64 v[24:25], -v[24:25], 1.0
	v_div_scale_f64 v[48:49], s[24:25], v[26:27], v[26:27], v[24:25]
	v_rcp_f64_e32 v[50:51], v[48:49]
	ds_read_b64 v[56:57], v45 offset:80
	ds_read_b64 v[82:83], v22
	v_div_scale_f64 v[52:53], vcc, v[24:25], v[26:27], v[24:25]
	v_fma_f64 v[54:55], -v[48:49], v[50:51], 1.0
	v_fmac_f64_e32 v[50:51], v[50:51], v[54:55]
	v_fma_f64 v[54:55], -v[48:49], v[50:51], 1.0
	v_fmac_f64_e32 v[50:51], v[50:51], v[54:55]
	v_mul_f64 v[54:55], v[52:53], v[50:51]
	v_fma_f64 v[48:49], -v[48:49], v[54:55], v[52:53]
	v_div_fmas_f64 v[48:49], v[48:49], v[50:51], v[54:55]
	v_div_fixup_f64 v[24:25], v[48:49], v[26:27], v[24:25]
	s_waitcnt lgkmcnt(0)
	v_add_f64 v[26:27], v[82:83], -v[56:57]
	v_add_u32_e32 v29, 0xa0, v45
	v_fmac_f64_e32 v[56:57], v[24:25], v[26:27]
	s_mov_b32 s26, -2
	s_or_b64 s[24:25], s[18:19], exec
	v_mov_b32_e32 v22, v18
	ds_write_b64 v46, v[56:57] offset:72
.LBB1_376:                              ;   in Loop: Header=BB1_368 Depth=2
	s_or_b64 exec, exec, s[22:23]
	s_andn2_b64 s[18:19], s[18:19], exec
	s_and_b64 s[22:23], s[24:25], exec
	v_mov_b32_e32 v46, s26
	s_or_b64 s[18:19], s[18:19], s[22:23]
	s_or_b64 exec, exec, s[20:21]
	s_and_saveexec_b64 s[20:21], s[18:19]
	s_cbranch_execz .LBB1_367
.LBB1_377:                              ;   in Loop: Header=BB1_368 Depth=2
	v_lshl_add_u32 v22, v22, 3, v67
	ds_read_b64 v[26:27], v29
	ds_read_b64 v[48:49], v22
	v_lshl_add_u32 v22, v28, 3, v67
	s_waitcnt lgkmcnt(0)
	v_add_f64 v[28:29], v[48:49], -v[26:27]
	v_fmac_f64_e32 v[26:27], v[24:25], v[28:29]
	v_add_u32_e32 v28, v46, v23
	ds_write_b64 v22, v[26:27]
	s_branch .LBB1_367
.LBB1_378:                              ;   in Loop: Header=BB1_293 Depth=1
	s_or_b64 exec, exec, s[6:7]
	v_add_u32_e32 v20, -9, v28
.LBB1_379:                              ;   in Loop: Header=BB1_293 Depth=1
	s_or_b64 exec, exec, s[4:5]
	v_cmp_ne_u32_e32 vcc, 0, v20
	v_mov_b32_e32 v26, 0
	s_and_saveexec_b64 s[4:5], vcc
	s_cbranch_execz .LBB1_393
; %bb.380:                              ;   in Loop: Header=BB1_293 Depth=1
	v_add_u32_e32 v18, 10, v20
	v_ashrrev_i32_e32 v19, 31, v18
	v_lshl_add_u32 v27, v20, 3, v58
	v_add_co_u32_e32 v20, vcc, -10, v18
	v_addc_co_u32_e32 v21, vcc, -1, v19, vcc
	s_mov_b64 s[6:7], 0
	v_mov_b32_e32 v22, 9
	v_mov_b32_e32 v26, 0
	v_mov_b32_e32 v23, 0
	s_branch .LBB1_382
.LBB1_381:                              ;   in Loop: Header=BB1_382 Depth=2
	s_or_b64 exec, exec, s[20:21]
	v_add_co_u32_e32 v24, vcc, 1, v18
	v_addc_co_u32_e32 v25, vcc, 0, v19, vcc
	v_add_co_u32_e32 v20, vcc, 1, v20
	v_addc_co_u32_e32 v21, vcc, 0, v21, vcc
	v_cmp_eq_u64_e32 vcc, 0, v[20:21]
	v_add_u32_e32 v27, 8, v27
	s_or_b64 s[6:7], vcc, s[6:7]
	v_pk_mov_b32 v[22:23], v[18:19], v[18:19] op_sel:[0,1]
	v_pk_mov_b32 v[18:19], v[24:25], v[24:25] op_sel:[0,1]
	s_andn2_b64 exec, exec, s[6:7]
	s_cbranch_execz .LBB1_392
.LBB1_382:                              ;   Parent Loop BB1_293 Depth=1
                                        ; =>  This Inner Loop Header: Depth=2
	v_lshl_add_u32 v46, v22, 3, v58
	ds_read_b64 v[28:29], v46
	s_mov_b64 s[18:19], 0
                                        ; implicit-def: $vgpr44
                                        ; implicit-def: $vgpr24_vgpr25
                                        ; implicit-def: $vgpr23
	s_waitcnt lgkmcnt(0)
	v_cmp_le_f64_e32 vcc, 0, v[28:29]
	s_and_saveexec_b64 s[20:21], vcc
	s_xor_b64 s[20:21], exec, s[20:21]
	s_cbranch_execnz .LBB1_385
; %bb.383:                              ;   in Loop: Header=BB1_382 Depth=2
	s_andn2_saveexec_b64 s[20:21], s[20:21]
	s_cbranch_execnz .LBB1_388
.LBB1_384:                              ;   in Loop: Header=BB1_382 Depth=2
	s_or_b64 exec, exec, s[20:21]
	s_and_saveexec_b64 s[20:21], s[18:19]
	s_cbranch_execz .LBB1_381
	s_branch .LBB1_391
.LBB1_385:                              ;   in Loop: Header=BB1_382 Depth=2
	v_lshl_add_u32 v45, v26, 3, v58
	ds_write_b64 v45, v[28:29]
	ds_read_b64 v[22:23], v46 offset:80
	v_add_u32_e32 v44, 1, v26
                                        ; implicit-def: $vgpr24_vgpr25
	s_waitcnt lgkmcnt(0)
	ds_write_b64 v45, v[22:23] offset:80
	ds_read_b64 v[22:23], v46 offset:160
	s_waitcnt lgkmcnt(0)
	ds_write_b64 v45, v[22:23] offset:160
	ds_read_b64 v[28:29], v27 offset:80
                                        ; implicit-def: $vgpr23
                                        ; implicit-def: $vgpr22
	s_waitcnt lgkmcnt(0)
	v_cmp_gt_f64_e32 vcc, 0, v[28:29]
	s_and_saveexec_b64 s[22:23], vcc
	s_cbranch_execz .LBB1_387
; %bb.386:                              ;   in Loop: Header=BB1_382 Depth=2
	ds_read_b64 v[24:25], v46
	v_add_f64 v[48:49], -v[28:29], 0
	v_mov_b32_e32 v43, v42
	ds_write_b64 v45, v[42:43] offset:8
	v_add_u32_e32 v23, 0xa0, v46
	s_waitcnt lgkmcnt(1)
	v_add_f64 v[24:25], v[24:25], -v[28:29]
	v_div_scale_f64 v[28:29], s[24:25], v[24:25], v[24:25], v[48:49]
	v_rcp_f64_e32 v[50:51], v[28:29]
	ds_read_b64 v[56:57], v27 offset:160
	ds_read_b64 v[46:47], v46 offset:80
	v_div_scale_f64 v[52:53], vcc, v[48:49], v[24:25], v[48:49]
	v_fma_f64 v[54:55], -v[28:29], v[50:51], 1.0
	v_fmac_f64_e32 v[50:51], v[50:51], v[54:55]
	v_fma_f64 v[54:55], -v[28:29], v[50:51], 1.0
	v_fmac_f64_e32 v[50:51], v[50:51], v[54:55]
	v_mul_f64 v[54:55], v[52:53], v[50:51]
	v_fma_f64 v[28:29], -v[28:29], v[54:55], v[52:53]
	v_div_fmas_f64 v[28:29], v[28:29], v[50:51], v[54:55]
	v_div_fixup_f64 v[24:25], v[28:29], v[24:25], v[48:49]
	s_waitcnt lgkmcnt(0)
	v_add_f64 v[28:29], v[46:47], -v[56:57]
	v_fmac_f64_e32 v[56:57], v[24:25], v[28:29]
	v_lshl_add_u32 v22, v26, 3, v73
	s_mov_b64 s[18:19], exec
	ds_write_b64 v22, v[56:57]
	v_mov_b32_e32 v22, v18
.LBB1_387:                              ;   in Loop: Header=BB1_382 Depth=2
	s_or_b64 exec, exec, s[22:23]
	s_and_b64 s[18:19], s[18:19], exec
	v_mov_b32_e32 v26, v44
                                        ; implicit-def: $vgpr28_vgpr29
                                        ; implicit-def: $vgpr46
	s_andn2_saveexec_b64 s[20:21], s[20:21]
	s_cbranch_execz .LBB1_384
.LBB1_388:                              ;   in Loop: Header=BB1_382 Depth=2
	ds_read_b64 v[44:45], v27 offset:80
	s_mov_b64 s[24:25], s[18:19]
                                        ; implicit-def: $vgpr24_vgpr25
                                        ; implicit-def: $vgpr23
	s_waitcnt lgkmcnt(0)
	v_cmp_le_f64_e32 vcc, 0, v[44:45]
	s_and_saveexec_b64 s[22:23], vcc
	s_cbranch_execz .LBB1_390
; %bb.389:                              ;   in Loop: Header=BB1_382 Depth=2
	v_add_f64 v[24:25], v[44:45], -v[28:29]
	v_add_f64 v[28:29], -v[28:29], 0
	v_div_scale_f64 v[44:45], s[24:25], v[24:25], v[24:25], v[28:29]
	v_rcp_f64_e32 v[48:49], v[44:45]
	v_lshl_add_u32 v23, v26, 3, v58
	v_mov_b32_e32 v43, v42
	ds_write_b64 v23, v[42:43]
	v_fma_f64 v[50:51], -v[44:45], v[48:49], 1.0
	v_fmac_f64_e32 v[48:49], v[48:49], v[50:51]
	v_fma_f64 v[50:51], -v[44:45], v[48:49], 1.0
	ds_read_b64 v[46:47], v46 offset:80
	ds_read_b64 v[54:55], v27 offset:160
	v_fmac_f64_e32 v[48:49], v[48:49], v[50:51]
	v_div_scale_f64 v[50:51], vcc, v[28:29], v[24:25], v[28:29]
	v_mul_f64 v[52:53], v[50:51], v[48:49]
	v_fma_f64 v[44:45], -v[44:45], v[52:53], v[50:51]
	s_or_b64 s[24:25], s[18:19], exec
	s_nop 0
	v_div_fmas_f64 v[44:45], v[44:45], v[48:49], v[52:53]
	v_div_fixup_f64 v[24:25], v[44:45], v[24:25], v[28:29]
	s_waitcnt lgkmcnt(0)
	v_add_f64 v[28:29], v[54:55], -v[46:47]
	v_fmac_f64_e32 v[46:47], v[24:25], v[28:29]
	ds_write_b64 v23, v[46:47] offset:80
	v_add_u32_e32 v23, 0xf0, v27
.LBB1_390:                              ;   in Loop: Header=BB1_382 Depth=2
	s_or_b64 exec, exec, s[22:23]
	s_andn2_b64 s[18:19], s[18:19], exec
	s_and_b64 s[22:23], s[24:25], exec
	s_or_b64 s[18:19], s[18:19], s[22:23]
	v_mov_b32_e32 v44, v26
	s_or_b64 exec, exec, s[20:21]
	s_and_saveexec_b64 s[20:21], s[18:19]
	s_cbranch_execz .LBB1_381
.LBB1_391:                              ;   in Loop: Header=BB1_382 Depth=2
	v_lshl_add_u32 v26, v22, 3, v67
	ds_read_b64 v[22:23], v23
	ds_read_b64 v[28:29], v26
	v_lshl_add_u32 v26, v44, 3, v67
	s_waitcnt lgkmcnt(0)
	v_add_f64 v[22:23], v[22:23], -v[28:29]
	v_fmac_f64_e32 v[28:29], v[24:25], v[22:23]
	ds_write_b64 v26, v[28:29]
	v_add_u32_e32 v26, 1, v44
	s_branch .LBB1_381
.LBB1_392:                              ;   in Loop: Header=BB1_293 Depth=1
	s_or_b64 exec, exec, s[6:7]
.LBB1_393:                              ;   in Loop: Header=BB1_293 Depth=1
	s_or_b64 exec, exec, s[4:5]
	v_ashrrev_i32_e32 v27, 31, v26
	v_cmp_lt_i32_e64 s[4:5], 0, v26
	s_and_saveexec_b64 s[6:7], s[4:5]
	s_cbranch_execz .LBB1_396
; %bb.394:                              ;   in Loop: Header=BB1_293 Depth=1
	v_mov_b32_e32 v20, 48
	s_mov_b64 s[18:19], 0
	v_mov_b32_e32 v21, v58
	v_pk_mov_b32 v[18:19], v[26:27], v[26:27] op_sel:[0,1]
.LBB1_395:                              ;   Parent Loop BB1_293 Depth=1
                                        ; =>  This Inner Loop Header: Depth=2
	ds_read2_b64 v[22:25], v21 offset1:10
	ds_read_b64 v[28:29], v21 offset:160
	v_add_co_u32_e32 v18, vcc, -1, v18
	v_addc_co_u32_e32 v19, vcc, -1, v19, vcc
	v_cmp_eq_u64_e32 vcc, 0, v[18:19]
	v_add_u32_e32 v21, 8, v21
	s_or_b64 s[18:19], vcc, s[18:19]
	s_waitcnt lgkmcnt(1)
	buffer_store_dword v23, v20, s[0:3], 0 offen offset:4
	buffer_store_dword v22, v20, s[0:3], 0 offen
	buffer_store_dword v25, v20, s[0:3], 0 offen offset:68
	buffer_store_dword v24, v20, s[0:3], 0 offen offset:64
	s_waitcnt lgkmcnt(0)
	buffer_store_dword v29, v20, s[0:3], 0 offen offset:132
	buffer_store_dword v28, v20, s[0:3], 0 offen offset:128
	v_add_u32_e32 v20, 8, v20
	s_andn2_b64 exec, exec, s[18:19]
	s_cbranch_execnz .LBB1_395
.LBB1_396:                              ;   in Loop: Header=BB1_293 Depth=1
	s_or_b64 exec, exec, s[6:7]
	v_add_u32_e32 v28, -1, v26
	v_ashrrev_i32_e32 v29, 31, v28
	v_cmp_ne_u32_e64 s[6:7], 0, v26
	v_mov_b32_e32 v43, 9
	s_and_saveexec_b64 s[18:19], s[6:7]
	s_cbranch_execnz .LBB1_399
; %bb.397:                              ;   in Loop: Header=BB1_293 Depth=1
	s_or_b64 exec, exec, s[18:19]
	v_cmp_gt_i32_e32 vcc, 7, v43
	s_and_saveexec_b64 s[18:19], vcc
	s_cbranch_execnz .LBB1_412
.LBB1_398:                              ;   in Loop: Header=BB1_293 Depth=1
	s_or_b64 exec, exec, s[18:19]
	s_and_saveexec_b64 s[18:19], s[4:5]
	s_cbranch_execnz .LBB1_419
	s_branch .LBB1_421
.LBB1_399:                              ;   in Loop: Header=BB1_293 Depth=1
	v_add_co_u32_e32 v18, vcc, 1, v28
	v_lshl_add_u32 v48, v26, 3, v75
	v_addc_co_u32_e32 v19, vcc, 0, v29, vcc
	s_mov_b64 s[20:21], 0
	v_pk_mov_b32 v[22:23], 0, 0
	v_mov_b32_e32 v43, 9
	v_pk_mov_b32 v[20:21], v[28:29], v[28:29] op_sel:[0,1]
	s_branch .LBB1_401
.LBB1_400:                              ;   in Loop: Header=BB1_401 Depth=2
	s_or_b64 exec, exec, s[24:25]
	v_add_co_u32_e32 v24, vcc, -1, v20
	v_addc_co_u32_e32 v25, vcc, -1, v21, vcc
	v_add_co_u32_e32 v18, vcc, -1, v18
	v_addc_co_u32_e32 v19, vcc, -1, v19, vcc
	v_cmp_eq_u64_e32 vcc, 0, v[18:19]
	v_add_u32_e32 v48, -8, v48
	s_or_b64 s[20:21], vcc, s[20:21]
	v_pk_mov_b32 v[22:23], v[20:21], v[20:21] op_sel:[0,1]
	v_pk_mov_b32 v[20:21], v[24:25], v[24:25] op_sel:[0,1]
	s_andn2_b64 exec, exec, s[20:21]
	s_cbranch_execz .LBB1_411
.LBB1_401:                              ;   Parent Loop BB1_293 Depth=1
                                        ; =>  This Inner Loop Header: Depth=2
	v_lshl_add_u32 v23, v22, 3, v58
	ds_read_b64 v[44:45], v23 offset:160
	s_mov_b64 s[22:23], 0
                                        ; implicit-def: $vgpr24_vgpr25
                                        ; implicit-def: $vgpr46
	s_waitcnt lgkmcnt(0)
	v_cmp_ge_f64_e32 vcc, v[44:45], v[34:35]
	s_and_saveexec_b64 s[24:25], vcc
	s_xor_b64 s[24:25], exec, s[24:25]
	s_cbranch_execnz .LBB1_404
; %bb.402:                              ;   in Loop: Header=BB1_401 Depth=2
	s_andn2_saveexec_b64 s[24:25], s[24:25]
	s_cbranch_execnz .LBB1_407
.LBB1_403:                              ;   in Loop: Header=BB1_401 Depth=2
	s_or_b64 exec, exec, s[24:25]
	s_and_saveexec_b64 s[24:25], s[22:23]
	s_cbranch_execz .LBB1_400
	s_branch .LBB1_410
.LBB1_404:                              ;   in Loop: Header=BB1_401 Depth=2
	v_lshl_add_u32 v47, v43, 3, v58
	ds_write_b64 v47, v[44:45] offset:160
	ds_read_b64 v[24:25], v23
	v_add_u32_e32 v43, -1, v43
                                        ; implicit-def: $vgpr46
                                        ; implicit-def: $vgpr22
	s_waitcnt lgkmcnt(0)
	ds_write_b64 v47, v[24:25]
	ds_read_b64 v[24:25], v23 offset:80
	s_waitcnt lgkmcnt(0)
	ds_write_b64 v47, v[24:25] offset:80
	ds_read_b64 v[44:45], v48 offset:80
                                        ; implicit-def: $vgpr24_vgpr25
	s_waitcnt lgkmcnt(0)
	v_cmp_lt_f64_e32 vcc, v[44:45], v[34:35]
	s_and_saveexec_b64 s[26:27], vcc
	s_cbranch_execz .LBB1_406
; %bb.405:                              ;   in Loop: Header=BB1_401 Depth=2
	ds_read_b64 v[24:25], v23 offset:160
	v_add_f64 v[50:51], v[34:35], -v[44:45]
	v_add_u32_e32 v22, 0xffffffb0, v48
	ds_write_b64 v47, v[34:35] offset:152
	v_add_u32_e32 v46, 0x50, v23
	s_waitcnt lgkmcnt(1)
	v_add_f64 v[24:25], v[24:25], -v[44:45]
	v_div_scale_f64 v[44:45], s[28:29], v[24:25], v[24:25], v[50:51]
	v_rcp_f64_e32 v[52:53], v[44:45]
	ds_read_b64 v[82:83], v22
	ds_read_b64 v[22:23], v23
	v_div_scale_f64 v[54:55], vcc, v[50:51], v[24:25], v[50:51]
	v_fma_f64 v[56:57], -v[44:45], v[52:53], 1.0
	v_fmac_f64_e32 v[52:53], v[52:53], v[56:57]
	v_fma_f64 v[56:57], -v[44:45], v[52:53], 1.0
	v_fmac_f64_e32 v[52:53], v[52:53], v[56:57]
	v_mul_f64 v[56:57], v[54:55], v[52:53]
	v_fma_f64 v[44:45], -v[44:45], v[56:57], v[54:55]
	v_div_fmas_f64 v[44:45], v[44:45], v[52:53], v[56:57]
	v_div_fixup_f64 v[24:25], v[44:45], v[24:25], v[50:51]
	s_waitcnt lgkmcnt(0)
	v_add_f64 v[22:23], v[22:23], -v[82:83]
	v_fmac_f64_e32 v[82:83], v[24:25], v[22:23]
	v_add_u32_e32 v22, -8, v47
	s_mov_b64 s[22:23], exec
	ds_write_b64 v22, v[82:83]
	v_mov_b32_e32 v22, v20
.LBB1_406:                              ;   in Loop: Header=BB1_401 Depth=2
	s_or_b64 exec, exec, s[26:27]
	s_and_b64 s[22:23], s[22:23], exec
                                        ; implicit-def: $vgpr44_vgpr45
                                        ; implicit-def: $vgpr23
	s_andn2_saveexec_b64 s[24:25], s[24:25]
	s_cbranch_execz .LBB1_403
.LBB1_407:                              ;   in Loop: Header=BB1_401 Depth=2
	ds_read_b64 v[46:47], v48 offset:80
	s_mov_b64 s[28:29], s[22:23]
                                        ; implicit-def: $vgpr24_vgpr25
	s_waitcnt lgkmcnt(0)
	v_cmp_ge_f64_e32 vcc, v[46:47], v[34:35]
	s_and_saveexec_b64 s[26:27], vcc
	s_cbranch_execz .LBB1_409
; %bb.408:                              ;   in Loop: Header=BB1_401 Depth=2
	v_add_f64 v[24:25], v[46:47], -v[44:45]
	v_add_f64 v[44:45], v[34:35], -v[44:45]
	v_div_scale_f64 v[46:47], s[28:29], v[24:25], v[24:25], v[44:45]
	v_rcp_f64_e32 v[50:51], v[46:47]
	v_lshl_add_u32 v81, v43, 3, v58
	ds_write_b64 v81, v[34:35] offset:160
	v_add_u32_e32 v49, 0xffffffb0, v48
	v_fma_f64 v[52:53], -v[46:47], v[50:51], 1.0
	v_fmac_f64_e32 v[50:51], v[50:51], v[52:53]
	v_fma_f64 v[52:53], -v[46:47], v[50:51], 1.0
	ds_read_b64 v[56:57], v23
	ds_read_b64 v[82:83], v49
	v_fmac_f64_e32 v[50:51], v[50:51], v[52:53]
	v_div_scale_f64 v[52:53], vcc, v[44:45], v[24:25], v[44:45]
	v_mul_f64 v[54:55], v[52:53], v[50:51]
	v_fma_f64 v[46:47], -v[46:47], v[54:55], v[52:53]
	s_or_b64 s[28:29], s[22:23], exec
	s_nop 0
	v_div_fmas_f64 v[46:47], v[46:47], v[50:51], v[54:55]
	v_div_fixup_f64 v[24:25], v[46:47], v[24:25], v[44:45]
	s_waitcnt lgkmcnt(0)
	v_add_f64 v[44:45], v[82:83], -v[56:57]
	v_fmac_f64_e32 v[56:57], v[24:25], v[44:45]
	ds_write_b64 v81, v[56:57]
.LBB1_409:                              ;   in Loop: Header=BB1_401 Depth=2
	s_or_b64 exec, exec, s[26:27]
	s_andn2_b64 s[22:23], s[22:23], exec
	s_and_b64 s[26:27], s[28:29], exec
	s_or_b64 s[22:23], s[22:23], s[26:27]
	v_mov_b32_e32 v46, v48
	s_or_b64 exec, exec, s[24:25]
	s_and_saveexec_b64 s[24:25], s[22:23]
	s_cbranch_execz .LBB1_400
.LBB1_410:                              ;   in Loop: Header=BB1_401 Depth=2
	v_lshl_add_u32 v44, v22, 3, v68
	ds_read_b64 v[22:23], v46
	ds_read_b64 v[44:45], v44
	v_lshl_add_u32 v46, v43, 3, v68
	v_add_u32_e32 v43, -1, v43
	s_waitcnt lgkmcnt(0)
	v_add_f64 v[22:23], v[22:23], -v[44:45]
	v_fmac_f64_e32 v[44:45], v[24:25], v[22:23]
	ds_write_b64 v46, v[44:45]
	s_branch .LBB1_400
.LBB1_411:                              ;   in Loop: Header=BB1_293 Depth=1
	s_or_b64 exec, exec, s[20:21]
	s_or_b64 exec, exec, s[18:19]
	v_cmp_gt_i32_e32 vcc, 7, v43
	s_and_saveexec_b64 s[18:19], vcc
	s_cbranch_execz .LBB1_398
.LBB1_412:                              ;   in Loop: Header=BB1_293 Depth=1
	v_sub_u32_e32 v54, 9, v43
	v_mov_b32_e32 v55, v42
	v_lshlrev_b32_e32 v81, 3, v43
	v_add_u32_e32 v20, v70, v81
	s_mov_b64 s[20:21], 0
	v_pk_mov_b32 v[18:19], v[54:55], v[54:55] op_sel:[0,1]
.LBB1_413:                              ;   Parent Loop BB1_293 Depth=1
                                        ; =>  This Inner Loop Header: Depth=2
	v_add_co_u32_e32 v18, vcc, -1, v18
	v_addc_co_u32_e32 v19, vcc, -1, v19, vcc
	v_cmp_eq_u64_e32 vcc, 0, v[18:19]
	ds_write_b64 v20, v[34:35]
	s_or_b64 s[20:21], vcc, s[20:21]
	v_add_u32_e32 v20, 8, v20
	s_andn2_b64 exec, exec, s[20:21]
	s_cbranch_execnz .LBB1_413
; %bb.414:                              ;   in Loop: Header=BB1_293 Depth=1
	s_or_b64 exec, exec, s[20:21]
	v_pk_mov_b32 v[44:45], 0, 0
	v_cmp_lt_u32_e32 vcc, 2, v54
	v_pk_mov_b32 v[46:47], v[44:45], v[44:45] op_sel:[0,1]
	v_pk_mov_b32 v[50:51], v[44:45], v[44:45] op_sel:[0,1]
	;; [unrolled: 1-line block ×3, first 2 shown]
	s_and_saveexec_b64 s[20:21], vcc
	s_cbranch_execz .LBB1_418
; %bb.415:                              ;   in Loop: Header=BB1_293 Depth=1
	v_lshl_add_u32 v43, v43, 3, v68
	v_add_u32_e32 v44, 0xffffffb8, v43
	ds_read2_b64 v[18:21], v43 offset0:1 offset1:2
	ds_read2_b64 v[22:25], v43 offset0:11 offset1:12
	v_subrev_u32_e32 v43, 64, v43
	ds_read_b64 v[52:53], v44
	ds_read_b64 v[56:57], v43
	v_add_co_u32_e32 v54, vcc, -2, v54
	v_addc_co_u32_e64 v55, s[22:23], 0, -1, vcc
	v_pk_mov_b32 v[48:49], 0, 0
	v_add_u32_e32 v43, v76, v81
	s_mov_b64 s[22:23], 0
	v_pk_mov_b32 v[50:51], v[48:49], v[48:49] op_sel:[0,1]
	v_pk_mov_b32 v[46:47], v[48:49], v[48:49] op_sel:[0,1]
	;; [unrolled: 1-line block ×3, first 2 shown]
.LBB1_416:                              ;   Parent Loop BB1_293 Depth=1
                                        ; =>  This Inner Loop Header: Depth=2
	ds_read2_b64 v[82:85], v43 offset1:10
	ds_read_b64 v[86:87], v43 offset:160
	s_waitcnt lgkmcnt(4)
	v_add_f64 v[88:89], v[22:23], v[24:25]
	s_waitcnt lgkmcnt(2)
	v_add_f64 v[90:91], v[52:53], v[56:57]
	v_add_f64 v[92:93], v[18:19], v[20:21]
	v_mul_f64 v[96:97], v[88:89], 0.5
	v_fma_f64 v[90:91], v[36:37], v[90:91], v[0:1]
	v_fma_f64 v[98:99], v[38:39], v[92:93], v[8:9]
	v_fma_f64 v[100:101], 0.5, v[96:97], v[4:5]
	s_waitcnt lgkmcnt(1)
	v_add_f64 v[104:105], v[20:21], v[84:85]
	v_add_f64 v[112:113], v[56:57], -v[82:83]
	v_add_f64 v[94:95], v[52:53], -v[56:57]
	v_fma_f64 v[90:91], v[90:91], v[96:97], 0
	v_fma_f64 v[98:99], v[96:97], v[98:99], 0
	;; [unrolled: 1-line block ×3, first 2 shown]
	s_waitcnt lgkmcnt(0)
	v_add_f64 v[100:101], v[24:25], v[86:87]
	v_add_f64 v[102:103], v[56:57], v[82:83]
	;; [unrolled: 1-line block ×3, first 2 shown]
	v_pk_mov_b32 v[24:25], v[86:87], v[86:87] op_sel:[0,1]
	v_fma_f64 v[86:87], v[38:39], v[104:105], v[8:9]
	v_mul_f64 v[104:105], v[112:113], v[104:105]
	v_fma_f64 v[88:89], v[88:89], 0.5, 0
	v_add_f64 v[108:109], v[52:53], v[82:83]
	v_add_f64 v[110:111], v[18:19], v[84:85]
	v_add_f64 v[114:115], v[82:83], -v[52:53]
	v_pk_mov_b32 v[56:57], v[82:83], v[82:83] op_sel:[0,1]
	v_pk_mov_b32 v[20:21], v[84:85], v[84:85] op_sel:[0,1]
	v_mul_f64 v[82:83], v[100:101], 0.5
	v_fma_f64 v[84:85], v[36:37], v[102:103], v[0:1]
	v_fmac_f64_e32 v[104:105], v[94:95], v[92:93]
	v_add_co_u32_e32 v54, vcc, -1, v54
	v_fmac_f64_e32 v[88:89], 0.5, v[100:101]
	v_mul_f64 v[100:101], v[106:107], 0.5
	v_fmac_f64_e32 v[90:91], v[84:85], v[82:83]
	v_fma_f64 v[84:85], 0.5, v[82:83], v[4:5]
	v_fmac_f64_e32 v[104:105], v[114:115], v[110:111]
	v_addc_co_u32_e32 v55, vcc, -1, v55, vcc
	v_fma_f64 v[102:103], v[36:37], v[108:109], v[0:1]
	v_fma_f64 v[108:109], v[38:39], v[110:111], v[8:9]
	v_fmac_f64_e32 v[98:99], v[82:83], v[86:87]
	v_fma_f64 v[86:87], 0.5, v[100:101], v[4:5]
	v_fmac_f64_e32 v[96:97], v[82:83], v[84:85]
	v_mul_f64 v[82:83], v[104:105], 0.5
	v_cmp_eq_u64_e32 vcc, 0, v[54:55]
	v_fmac_f64_e32 v[88:89], 0.5, v[106:107]
	v_fmac_f64_e32 v[90:91], v[102:103], v[100:101]
	v_fmac_f64_e32 v[98:99], v[100:101], v[108:109]
	;; [unrolled: 1-line block ×3, first 2 shown]
	v_mul_f64 v[82:83], v[82:83], s[14:15]
	v_add_u32_e32 v43, 8, v43
	s_or_b64 s[22:23], vcc, s[22:23]
	v_fmac_f64_e32 v[48:49], v[88:89], v[82:83]
	v_fmac_f64_e32 v[50:51], v[82:83], v[90:91]
	;; [unrolled: 1-line block ×4, first 2 shown]
	s_andn2_b64 exec, exec, s[22:23]
	s_cbranch_execnz .LBB1_416
; %bb.417:                              ;   in Loop: Header=BB1_293 Depth=1
	s_or_b64 exec, exec, s[22:23]
.LBB1_418:                              ;   in Loop: Header=BB1_293 Depth=1
	s_or_b64 exec, exec, s[20:21]
	v_fmac_f64_e32 v[14:15], v[2:3], v[48:49]
	v_fmac_f64_e32 v[16:17], v[2:3], v[50:51]
	;; [unrolled: 1-line block ×4, first 2 shown]
	s_or_b64 exec, exec, s[18:19]
	s_and_saveexec_b64 s[18:19], s[4:5]
	s_cbranch_execz .LBB1_421
.LBB1_419:                              ;   in Loop: Header=BB1_293 Depth=1
	v_mov_b32_e32 v20, 48
	s_mov_b64 s[4:5], 0
	v_mov_b32_e32 v21, v58
	v_pk_mov_b32 v[18:19], v[26:27], v[26:27] op_sel:[0,1]
.LBB1_420:                              ;   Parent Loop BB1_293 Depth=1
                                        ; =>  This Inner Loop Header: Depth=2
	buffer_load_dword v22, v20, s[0:3], 0 offen
	buffer_load_dword v23, v20, s[0:3], 0 offen offset:4
	buffer_load_dword v24, v20, s[0:3], 0 offen offset:128
	;; [unrolled: 1-line block ×5, first 2 shown]
	v_add_co_u32_e32 v18, vcc, -1, v18
	v_addc_co_u32_e32 v19, vcc, -1, v19, vcc
	v_cmp_eq_u64_e32 vcc, 0, v[18:19]
	v_add_u32_e32 v20, 8, v20
	s_or_b64 s[4:5], vcc, s[4:5]
	s_waitcnt vmcnt(1)
	ds_write2_b64 v21, v[22:23], v[44:45] offset1:10
	s_waitcnt vmcnt(0)
	ds_write_b64 v21, v[24:25] offset:160
	v_add_u32_e32 v21, 8, v21
	s_andn2_b64 exec, exec, s[4:5]
	s_cbranch_execnz .LBB1_420
.LBB1_421:                              ;   in Loop: Header=BB1_293 Depth=1
	s_or_b64 exec, exec, s[18:19]
	v_mov_b32_e32 v20, 0
	s_and_saveexec_b64 s[4:5], s[6:7]
	s_cbranch_execz .LBB1_435
; %bb.422:                              ;   in Loop: Header=BB1_293 Depth=1
	v_add_co_u32_e32 v18, vcc, 1, v28
	v_pk_mov_b32 v[20:21], 0, 0
	v_lshl_add_u32 v43, v26, 3, v77
	v_addc_co_u32_e32 v19, vcc, 0, v29, vcc
	s_mov_b64 s[6:7], 0
	v_mov_b32_e32 v21, 9
	s_branch .LBB1_424
.LBB1_423:                              ;   in Loop: Header=BB1_424 Depth=2
	s_or_b64 exec, exec, s[20:21]
	v_add_co_u32_e32 v22, vcc, -1, v28
	v_addc_co_u32_e32 v23, vcc, -1, v29, vcc
	v_add_co_u32_e32 v18, vcc, -1, v18
	v_addc_co_u32_e32 v19, vcc, -1, v19, vcc
	v_cmp_eq_u64_e32 vcc, 0, v[18:19]
	v_pk_mov_b32 v[20:21], v[28:29], v[28:29] op_sel:[0,1]
	v_add_u32_e32 v43, -8, v43
	s_or_b64 s[6:7], vcc, s[6:7]
	v_mov_b32_e32 v21, v26
	v_pk_mov_b32 v[28:29], v[22:23], v[22:23] op_sel:[0,1]
	s_andn2_b64 exec, exec, s[6:7]
	s_cbranch_execz .LBB1_434
.LBB1_424:                              ;   Parent Loop BB1_293 Depth=1
                                        ; =>  This Inner Loop Header: Depth=2
	v_lshl_add_u32 v45, v20, 3, v58
	ds_read_b64 v[24:25], v45 offset:160
	s_mov_b64 s[18:19], 0
                                        ; implicit-def: $sgpr24
                                        ; implicit-def: $vgpr26
                                        ; implicit-def: $vgpr22_vgpr23
                                        ; implicit-def: $vgpr44
	s_waitcnt lgkmcnt(0)
	v_cmp_nlt_f64_e32 vcc, v[24:25], v[34:35]
	s_and_saveexec_b64 s[20:21], vcc
	s_xor_b64 s[20:21], exec, s[20:21]
	s_cbranch_execnz .LBB1_427
; %bb.425:                              ;   in Loop: Header=BB1_424 Depth=2
	s_or_saveexec_b64 s[20:21], s[20:21]
	v_mov_b32_e32 v27, s24
	s_xor_b64 exec, exec, s[20:21]
	s_cbranch_execnz .LBB1_430
.LBB1_426:                              ;   in Loop: Header=BB1_424 Depth=2
	s_or_b64 exec, exec, s[20:21]
	s_and_saveexec_b64 s[20:21], s[18:19]
	s_cbranch_execz .LBB1_423
	s_branch .LBB1_433
.LBB1_427:                              ;   in Loop: Header=BB1_424 Depth=2
	ds_read_b64 v[26:27], v43 offset:160
                                        ; implicit-def: $sgpr24
                                        ; implicit-def: $vgpr22_vgpr23
                                        ; implicit-def: $vgpr44
	s_waitcnt lgkmcnt(0)
	v_cmp_lt_f64_e32 vcc, v[26:27], v[34:35]
	s_and_saveexec_b64 s[22:23], vcc
	s_xor_b64 s[22:23], exec, s[22:23]
	s_cbranch_execz .LBB1_429
; %bb.428:                              ;   in Loop: Header=BB1_424 Depth=2
	v_add_f64 v[22:23], v[24:25], -v[26:27]
	v_add_f64 v[24:25], v[34:35], -v[26:27]
	v_div_scale_f64 v[26:27], s[24:25], v[22:23], v[22:23], v[24:25]
	v_rcp_f64_e32 v[46:47], v[26:27]
	v_lshl_add_u32 v54, v21, 3, v58
	ds_write_b64 v54, v[34:35] offset:160
	ds_read_b64 v[52:53], v43
	ds_read_b64 v[44:45], v45
	v_fma_f64 v[48:49], -v[26:27], v[46:47], 1.0
	v_fmac_f64_e32 v[46:47], v[46:47], v[48:49]
	v_fma_f64 v[48:49], -v[26:27], v[46:47], 1.0
	v_fmac_f64_e32 v[46:47], v[46:47], v[48:49]
	v_div_scale_f64 v[48:49], vcc, v[24:25], v[22:23], v[24:25]
	v_mul_f64 v[50:51], v[48:49], v[46:47]
	v_fma_f64 v[26:27], -v[26:27], v[50:51], v[48:49]
	s_mov_b64 s[18:19], exec
	s_nop 0
	v_div_fmas_f64 v[26:27], v[26:27], v[46:47], v[50:51]
	v_div_fixup_f64 v[22:23], v[26:27], v[22:23], v[24:25]
	s_waitcnt lgkmcnt(0)
	v_add_f64 v[24:25], v[44:45], -v[52:53]
	v_fmac_f64_e32 v[52:53], v[22:23], v[24:25]
	v_add_u32_e32 v44, 0x50, v43
	s_mov_b32 s24, -1
	ds_write_b64 v54, v[52:53]
.LBB1_429:                              ;   in Loop: Header=BB1_424 Depth=2
	s_or_b64 exec, exec, s[22:23]
	s_and_b64 s[18:19], s[18:19], exec
	v_mov_b32_e32 v26, v21
                                        ; implicit-def: $vgpr24_vgpr25
                                        ; implicit-def: $vgpr45
	s_or_saveexec_b64 s[20:21], s[20:21]
	v_mov_b32_e32 v27, s24
	s_xor_b64 exec, exec, s[20:21]
	s_cbranch_execz .LBB1_426
.LBB1_430:                              ;   in Loop: Header=BB1_424 Depth=2
	v_lshl_add_u32 v27, v21, 3, v58
	ds_write_b64 v27, v[24:25] offset:160
	ds_read_b64 v[22:23], v45
	v_add_u32_e32 v26, -1, v21
	s_mov_b64 s[24:25], s[18:19]
                                        ; implicit-def: $sgpr26
                                        ; implicit-def: $vgpr44
                                        ; implicit-def: $vgpr20
	s_waitcnt lgkmcnt(0)
	ds_write_b64 v27, v[22:23]
	ds_read_b64 v[22:23], v45 offset:80
	s_waitcnt lgkmcnt(0)
	ds_write_b64 v27, v[22:23] offset:80
	ds_read_b64 v[24:25], v43 offset:160
                                        ; implicit-def: $vgpr22_vgpr23
	s_waitcnt lgkmcnt(0)
	v_cmp_ge_f64_e32 vcc, v[24:25], v[34:35]
	s_and_saveexec_b64 s[22:23], vcc
	s_cbranch_execz .LBB1_432
; %bb.431:                              ;   in Loop: Header=BB1_424 Depth=2
	ds_read_b64 v[22:23], v45 offset:160
	ds_write_b64 v27, v[34:35] offset:152
	ds_read_b64 v[50:51], v45
	ds_read_b64 v[56:57], v43
	v_add_u32_e32 v20, -8, v27
	s_waitcnt lgkmcnt(3)
	v_add_f64 v[24:25], v[24:25], -v[22:23]
	v_add_f64 v[22:23], v[34:35], -v[22:23]
	v_div_scale_f64 v[46:47], s[24:25], v[24:25], v[24:25], v[22:23]
	v_rcp_f64_e32 v[48:49], v[46:47]
	v_div_scale_f64 v[52:53], vcc, v[22:23], v[24:25], v[22:23]
	v_add_u32_e32 v44, 0x50, v45
	v_fma_f64 v[54:55], -v[46:47], v[48:49], 1.0
	v_fmac_f64_e32 v[48:49], v[48:49], v[54:55]
	v_fma_f64 v[54:55], -v[46:47], v[48:49], 1.0
	v_fmac_f64_e32 v[48:49], v[48:49], v[54:55]
	v_mul_f64 v[54:55], v[52:53], v[48:49]
	v_fma_f64 v[46:47], -v[46:47], v[54:55], v[52:53]
	v_div_fmas_f64 v[46:47], v[46:47], v[48:49], v[54:55]
	v_div_fixup_f64 v[22:23], v[46:47], v[24:25], v[22:23]
	s_waitcnt lgkmcnt(0)
	v_add_f64 v[24:25], v[56:57], -v[50:51]
	v_fmac_f64_e32 v[50:51], v[22:23], v[24:25]
	ds_write_b64 v20, v[50:51]
	s_mov_b32 s26, -2
	s_or_b64 s[24:25], s[18:19], exec
	v_mov_b32_e32 v20, v28
.LBB1_432:                              ;   in Loop: Header=BB1_424 Depth=2
	s_or_b64 exec, exec, s[22:23]
	s_andn2_b64 s[18:19], s[18:19], exec
	s_and_b64 s[22:23], s[24:25], exec
	v_mov_b32_e32 v27, s26
	s_or_b64 s[18:19], s[18:19], s[22:23]
	s_or_b64 exec, exec, s[20:21]
	s_and_saveexec_b64 s[20:21], s[18:19]
	s_cbranch_execz .LBB1_423
.LBB1_433:                              ;   in Loop: Header=BB1_424 Depth=2
	v_lshl_add_u32 v20, v20, 3, v68
	ds_read_b64 v[24:25], v44
	ds_read_b64 v[44:45], v20
	v_lshl_add_u32 v20, v26, 3, v68
	v_add_u32_e32 v26, v27, v21
	s_waitcnt lgkmcnt(0)
	v_add_f64 v[44:45], v[44:45], -v[24:25]
	v_fmac_f64_e32 v[24:25], v[22:23], v[44:45]
	ds_write_b64 v20, v[24:25]
	s_branch .LBB1_423
.LBB1_434:                              ;   in Loop: Header=BB1_293 Depth=1
	s_or_b64 exec, exec, s[6:7]
	v_add_u32_e32 v20, -9, v26
.LBB1_435:                              ;   in Loop: Header=BB1_293 Depth=1
	s_or_b64 exec, exec, s[4:5]
	v_cmp_ne_u32_e32 vcc, 0, v20
	v_mov_b32_e32 v45, 0
	s_and_saveexec_b64 s[4:5], vcc
	s_cbranch_execz .LBB1_449
; %bb.436:                              ;   in Loop: Header=BB1_293 Depth=1
	v_add_u32_e32 v18, 10, v20
	v_ashrrev_i32_e32 v19, 31, v18
	v_lshl_add_u32 v44, v20, 3, v68
	v_add_co_u32_e32 v20, vcc, -10, v18
	v_addc_co_u32_e32 v21, vcc, -1, v19, vcc
	s_mov_b64 s[6:7], 0
	v_mov_b32_e32 v22, 9
	v_mov_b32_e32 v45, 0
	;; [unrolled: 1-line block ×3, first 2 shown]
	s_branch .LBB1_438
.LBB1_437:                              ;   in Loop: Header=BB1_438 Depth=2
	s_or_b64 exec, exec, s[20:21]
	v_add_co_u32_e32 v24, vcc, 1, v18
	v_addc_co_u32_e32 v25, vcc, 0, v19, vcc
	v_add_co_u32_e32 v20, vcc, 1, v20
	v_addc_co_u32_e32 v21, vcc, 0, v21, vcc
	v_cmp_eq_u64_e32 vcc, 0, v[20:21]
	v_add_u32_e32 v44, 8, v44
	s_or_b64 s[6:7], vcc, s[6:7]
	v_pk_mov_b32 v[22:23], v[18:19], v[18:19] op_sel:[0,1]
	v_pk_mov_b32 v[18:19], v[24:25], v[24:25] op_sel:[0,1]
	s_andn2_b64 exec, exec, s[6:7]
	s_cbranch_execz .LBB1_448
.LBB1_438:                              ;   Parent Loop BB1_293 Depth=1
                                        ; =>  This Inner Loop Header: Depth=2
	v_lshl_add_u32 v46, v22, 3, v58
	ds_read_b64 v[26:27], v46 offset:160
	s_mov_b64 s[18:19], 0
                                        ; implicit-def: $vgpr28
                                        ; implicit-def: $vgpr24_vgpr25
                                        ; implicit-def: $vgpr23
	s_waitcnt lgkmcnt(0)
	v_cmp_le_f64_e32 vcc, 0, v[26:27]
	s_and_saveexec_b64 s[20:21], vcc
	s_xor_b64 s[20:21], exec, s[20:21]
	s_cbranch_execnz .LBB1_441
; %bb.439:                              ;   in Loop: Header=BB1_438 Depth=2
	s_andn2_saveexec_b64 s[20:21], s[20:21]
	s_cbranch_execnz .LBB1_444
.LBB1_440:                              ;   in Loop: Header=BB1_438 Depth=2
	s_or_b64 exec, exec, s[20:21]
	s_and_saveexec_b64 s[20:21], s[18:19]
	s_cbranch_execz .LBB1_437
	s_branch .LBB1_447
.LBB1_441:                              ;   in Loop: Header=BB1_438 Depth=2
	v_lshl_add_u32 v29, v45, 3, v58
	ds_write_b64 v29, v[26:27] offset:160
	ds_read_b64 v[22:23], v46
	v_add_u32_e32 v28, 1, v45
                                        ; implicit-def: $vgpr24_vgpr25
	s_waitcnt lgkmcnt(0)
	ds_write_b64 v29, v[22:23]
	ds_read_b64 v[22:23], v46 offset:80
	s_waitcnt lgkmcnt(0)
	ds_write_b64 v29, v[22:23] offset:80
	ds_read_b64 v[26:27], v44 offset:160
                                        ; implicit-def: $vgpr23
                                        ; implicit-def: $vgpr22
	s_waitcnt lgkmcnt(0)
	v_cmp_gt_f64_e32 vcc, 0, v[26:27]
	s_and_saveexec_b64 s[22:23], vcc
	s_cbranch_execz .LBB1_443
; %bb.442:                              ;   in Loop: Header=BB1_438 Depth=2
	ds_read_b64 v[24:25], v46 offset:160
	v_add_f64 v[48:49], -v[26:27], 0
	v_lshl_add_u32 v22, v45, 3, v70
	v_mov_b32_e32 v43, v42
	ds_write_b64 v22, v[42:43]
	s_waitcnt lgkmcnt(1)
	v_add_f64 v[24:25], v[24:25], -v[26:27]
	v_div_scale_f64 v[26:27], s[24:25], v[24:25], v[24:25], v[48:49]
	v_rcp_f64_e32 v[50:51], v[26:27]
	v_add_u32_e32 v23, 0x50, v46
	ds_read_b64 v[56:57], v44
	ds_read_b64 v[46:47], v46
	v_div_scale_f64 v[52:53], vcc, v[48:49], v[24:25], v[48:49]
	v_fma_f64 v[54:55], -v[26:27], v[50:51], 1.0
	v_fmac_f64_e32 v[50:51], v[50:51], v[54:55]
	v_fma_f64 v[54:55], -v[26:27], v[50:51], 1.0
	v_fmac_f64_e32 v[50:51], v[50:51], v[54:55]
	v_mul_f64 v[54:55], v[52:53], v[50:51]
	v_fma_f64 v[26:27], -v[26:27], v[54:55], v[52:53]
	v_div_fmas_f64 v[26:27], v[26:27], v[50:51], v[54:55]
	v_div_fixup_f64 v[24:25], v[26:27], v[24:25], v[48:49]
	s_waitcnt lgkmcnt(0)
	v_add_f64 v[26:27], v[46:47], -v[56:57]
	s_mov_b64 s[18:19], exec
	v_fmac_f64_e32 v[56:57], v[24:25], v[26:27]
	v_mov_b32_e32 v22, v18
	ds_write_b64 v29, v[56:57] offset:8
.LBB1_443:                              ;   in Loop: Header=BB1_438 Depth=2
	s_or_b64 exec, exec, s[22:23]
	s_and_b64 s[18:19], s[18:19], exec
	v_mov_b32_e32 v45, v28
                                        ; implicit-def: $vgpr26_vgpr27
                                        ; implicit-def: $vgpr46
	s_andn2_saveexec_b64 s[20:21], s[20:21]
	s_cbranch_execz .LBB1_440
.LBB1_444:                              ;   in Loop: Header=BB1_438 Depth=2
	ds_read_b64 v[28:29], v44 offset:160
	s_mov_b64 s[24:25], s[18:19]
                                        ; implicit-def: $vgpr24_vgpr25
                                        ; implicit-def: $vgpr23
	s_waitcnt lgkmcnt(0)
	v_cmp_le_f64_e32 vcc, 0, v[28:29]
	s_and_saveexec_b64 s[22:23], vcc
	s_cbranch_execz .LBB1_446
; %bb.445:                              ;   in Loop: Header=BB1_438 Depth=2
	v_add_f64 v[24:25], v[28:29], -v[26:27]
	v_add_f64 v[26:27], -v[26:27], 0
	v_div_scale_f64 v[28:29], s[24:25], v[24:25], v[24:25], v[26:27]
	v_rcp_f64_e32 v[48:49], v[28:29]
	v_lshl_add_u32 v23, v45, 3, v58
	v_mov_b32_e32 v43, v42
	ds_write_b64 v23, v[42:43] offset:160
	v_fma_f64 v[50:51], -v[28:29], v[48:49], 1.0
	v_fmac_f64_e32 v[48:49], v[48:49], v[50:51]
	v_fma_f64 v[50:51], -v[28:29], v[48:49], 1.0
	ds_read_b64 v[46:47], v46
	ds_read_b64 v[54:55], v44
	v_fmac_f64_e32 v[48:49], v[48:49], v[50:51]
	v_div_scale_f64 v[50:51], vcc, v[26:27], v[24:25], v[26:27]
	v_mul_f64 v[52:53], v[50:51], v[48:49]
	v_fma_f64 v[28:29], -v[28:29], v[52:53], v[50:51]
	s_or_b64 s[24:25], s[18:19], exec
	s_nop 0
	v_div_fmas_f64 v[28:29], v[28:29], v[48:49], v[52:53]
	v_div_fixup_f64 v[24:25], v[28:29], v[24:25], v[26:27]
	s_waitcnt lgkmcnt(0)
	v_add_f64 v[26:27], v[54:55], -v[46:47]
	v_fmac_f64_e32 v[46:47], v[24:25], v[26:27]
	ds_write_b64 v23, v[46:47]
	v_add_u32_e32 v23, 0x50, v44
.LBB1_446:                              ;   in Loop: Header=BB1_438 Depth=2
	s_or_b64 exec, exec, s[22:23]
	s_andn2_b64 s[18:19], s[18:19], exec
	s_and_b64 s[22:23], s[24:25], exec
	s_or_b64 s[18:19], s[18:19], s[22:23]
	v_mov_b32_e32 v28, v45
	s_or_b64 exec, exec, s[20:21]
	s_and_saveexec_b64 s[20:21], s[18:19]
	s_cbranch_execz .LBB1_437
.LBB1_447:                              ;   in Loop: Header=BB1_438 Depth=2
	v_lshl_add_u32 v26, v22, 3, v68
	ds_read_b64 v[22:23], v23
	ds_read_b64 v[26:27], v26
	v_lshl_add_u32 v29, v28, 3, v68
	v_add_u32_e32 v45, 1, v28
	s_waitcnt lgkmcnt(0)
	v_add_f64 v[22:23], v[22:23], -v[26:27]
	v_fmac_f64_e32 v[26:27], v[24:25], v[22:23]
	ds_write_b64 v29, v[26:27]
	s_branch .LBB1_437
.LBB1_448:                              ;   in Loop: Header=BB1_293 Depth=1
	s_or_b64 exec, exec, s[6:7]
.LBB1_449:                              ;   in Loop: Header=BB1_293 Depth=1
	s_or_b64 exec, exec, s[4:5]
	v_cmp_lt_i32_e32 vcc, 2, v45
	s_and_saveexec_b64 s[4:5], vcc
	s_cbranch_execz .LBB1_292
; %bb.450:                              ;   in Loop: Header=BB1_293 Depth=1
	ds_read2_b64 v[18:21], v58 offset1:1
	ds_read2_b64 v[22:25], v58 offset0:10 offset1:11
	ds_read2_b64 v[26:29], v58 offset0:20 offset1:21
	v_add_co_u32_e32 v44, vcc, -2, v45
	v_addc_co_u32_e64 v45, s[6:7], 0, -1, vcc
	v_pk_mov_b32 v[46:47], 0, 0
	s_mov_b64 s[6:7], 0
	v_mov_b32_e32 v43, v78
	v_pk_mov_b32 v[52:53], v[46:47], v[46:47] op_sel:[0,1]
	v_pk_mov_b32 v[50:51], v[46:47], v[46:47] op_sel:[0,1]
	;; [unrolled: 1-line block ×3, first 2 shown]
.LBB1_451:                              ;   Parent Loop BB1_293 Depth=1
                                        ; =>  This Inner Loop Header: Depth=2
	ds_read2_b64 v[54:57], v43 offset1:10
	ds_read_b64 v[82:83], v43 offset:160
	s_waitcnt lgkmcnt(2)
	v_add_f64 v[84:85], v[26:27], v[28:29]
	v_add_f64 v[86:87], v[18:19], v[20:21]
	;; [unrolled: 1-line block ×3, first 2 shown]
	v_mul_f64 v[92:93], v[84:85], 0.5
	v_fma_f64 v[86:87], v[36:37], v[86:87], v[0:1]
	v_fma_f64 v[94:95], v[38:39], v[88:89], v[8:9]
	v_fma_f64 v[96:97], 0.5, v[92:93], v[4:5]
	s_waitcnt lgkmcnt(1)
	v_add_f64 v[100:101], v[24:25], v[56:57]
	v_add_f64 v[108:109], v[20:21], -v[54:55]
	v_add_f64 v[90:91], v[18:19], -v[20:21]
	v_fma_f64 v[86:87], v[86:87], v[92:93], 0
	v_fma_f64 v[94:95], v[92:93], v[94:95], 0
	;; [unrolled: 1-line block ×3, first 2 shown]
	s_waitcnt lgkmcnt(0)
	v_add_f64 v[96:97], v[28:29], v[82:83]
	v_add_f64 v[98:99], v[20:21], v[54:55]
	;; [unrolled: 1-line block ×3, first 2 shown]
	v_pk_mov_b32 v[28:29], v[82:83], v[82:83] op_sel:[0,1]
	v_fma_f64 v[82:83], v[38:39], v[100:101], v[8:9]
	v_mul_f64 v[100:101], v[108:109], v[100:101]
	v_fma_f64 v[84:85], v[84:85], 0.5, 0
	v_add_f64 v[104:105], v[18:19], v[54:55]
	v_add_f64 v[106:107], v[22:23], v[56:57]
	v_add_f64 v[110:111], v[54:55], -v[18:19]
	v_pk_mov_b32 v[20:21], v[54:55], v[54:55] op_sel:[0,1]
	v_pk_mov_b32 v[24:25], v[56:57], v[56:57] op_sel:[0,1]
	v_mul_f64 v[54:55], v[96:97], 0.5
	v_fma_f64 v[56:57], v[36:37], v[98:99], v[0:1]
	v_fmac_f64_e32 v[100:101], v[90:91], v[88:89]
	v_add_co_u32_e32 v44, vcc, -1, v44
	v_fmac_f64_e32 v[84:85], 0.5, v[96:97]
	v_mul_f64 v[96:97], v[102:103], 0.5
	v_fmac_f64_e32 v[86:87], v[56:57], v[54:55]
	v_fma_f64 v[56:57], 0.5, v[54:55], v[4:5]
	v_fmac_f64_e32 v[100:101], v[110:111], v[106:107]
	v_addc_co_u32_e32 v45, vcc, -1, v45, vcc
	v_fma_f64 v[98:99], v[36:37], v[104:105], v[0:1]
	v_fma_f64 v[104:105], v[38:39], v[106:107], v[8:9]
	v_fmac_f64_e32 v[94:95], v[54:55], v[82:83]
	v_fma_f64 v[82:83], 0.5, v[96:97], v[4:5]
	v_fmac_f64_e32 v[92:93], v[54:55], v[56:57]
	v_mul_f64 v[54:55], v[100:101], 0.5
	v_cmp_eq_u64_e32 vcc, 0, v[44:45]
	v_fmac_f64_e32 v[84:85], 0.5, v[102:103]
	v_fmac_f64_e32 v[86:87], v[98:99], v[96:97]
	v_fmac_f64_e32 v[94:95], v[96:97], v[104:105]
	;; [unrolled: 1-line block ×3, first 2 shown]
	v_mul_f64 v[54:55], v[54:55], s[14:15]
	v_add_u32_e32 v43, 8, v43
	s_or_b64 s[6:7], vcc, s[6:7]
	v_fmac_f64_e32 v[46:47], v[84:85], v[54:55]
	v_fmac_f64_e32 v[52:53], v[54:55], v[86:87]
	;; [unrolled: 1-line block ×4, first 2 shown]
	s_andn2_b64 exec, exec, s[6:7]
	s_cbranch_execnz .LBB1_451
; %bb.452:                              ;   in Loop: Header=BB1_293 Depth=1
	s_or_b64 exec, exec, s[6:7]
	v_fmac_f64_e32 v[14:15], v[2:3], v[46:47]
	v_fmac_f64_e32 v[16:17], v[2:3], v[52:53]
	;; [unrolled: 1-line block ×4, first 2 shown]
	s_branch .LBB1_292
.LBB1_453:
	s_or_b64 exec, exec, s[8:9]
.LBB1_454:
	s_or_b64 exec, exec, s[10:11]
	buffer_load_dword v19, off, s[0:3], 0 offset:4
	v_add_u32_e32 v52, 64, v66
	s_waitcnt vmcnt(0)
	v_and_b32_e32 v18, 1, v19
	v_cmp_eq_u32_e32 vcc, 1, v18
	v_mov_b32_e32 v18, 0
	s_and_saveexec_b64 s[4:5], vcc
	s_cbranch_execz .LBB1_456
; %bb.455:
	v_mov_b32_e32 v18, 0
	buffer_store_byte v18, off, s[0:3], 0 offset:16
	v_mov_b32_e32 v18, 1
.LBB1_456:
	s_or_b64 exec, exec, s[4:5]
	v_and_b32_e32 v20, 2, v19
	v_cmp_ne_u32_e32 vcc, 0, v20
	s_and_saveexec_b64 s[4:5], vcc
	s_cbranch_execz .LBB1_458
; %bb.457:
	v_add_u32_e32 v20, 1, v18
	v_or_b32_e32 v18, 16, v18
	v_mov_b32_e32 v21, 1
	buffer_store_byte v21, v18, s[0:3], 0 offen
	v_mov_b32_e32 v18, v20
.LBB1_458:
	s_or_b64 exec, exec, s[4:5]
	v_and_b32_e32 v20, 4, v19
	v_cmp_ne_u32_e32 vcc, 0, v20
	s_and_saveexec_b64 s[4:5], vcc
	s_cbranch_execz .LBB1_460
; %bb.459:
	v_add_u32_e32 v20, 1, v18
	v_or_b32_e32 v18, 16, v18
	v_mov_b32_e32 v21, 2
	buffer_store_byte v21, v18, s[0:3], 0 offen
	v_mov_b32_e32 v18, v20
.LBB1_460:
	;; [unrolled: 12-line block ×4, first 2 shown]
	s_or_b64 exec, exec, s[4:5]
	v_and_b32_e32 v20, 32, v19
	v_cmp_ne_u32_e32 vcc, 0, v20
	s_and_saveexec_b64 s[4:5], vcc
	s_cbranch_execz .LBB1_466
; %bb.465:
	v_add_u32_e32 v20, 1, v18
	v_add_u32_e32 v18, 16, v18
	v_mov_b32_e32 v21, 5
	buffer_store_byte v21, v18, s[0:3], 0 offen
	v_mov_b32_e32 v18, v20
.LBB1_466:
	s_or_b64 exec, exec, s[4:5]
	v_and_b32_e32 v20, 64, v19
	v_cmp_ne_u32_e32 vcc, 0, v20
	s_and_saveexec_b64 s[4:5], vcc
	s_cbranch_execz .LBB1_468
; %bb.467:
	v_add_u32_e32 v20, 1, v18
	v_add_u32_e32 v18, 16, v18
	v_mov_b32_e32 v21, 6
	buffer_store_byte v21, v18, s[0:3], 0 offen
	v_mov_b32_e32 v18, v20
.LBB1_468:
	;; [unrolled: 12-line block ×19, first 2 shown]
	s_or_b64 exec, exec, s[4:5]
	v_cmp_ne_u32_e32 vcc, 0, v18
	s_and_saveexec_b64 s[4:5], vcc
	s_cbranch_execz .LBB1_534
; %bb.503:
	v_add_f64 v[26:27], v[34:35], v[34:35]
	v_mul_f64 v[20:21], v[26:27], 0.5
	v_fma_f64 v[28:29], 0.5, v[20:21], v[4:5]
	v_fma_f64 v[22:23], v[26:27], 0.5, 0
	v_fma_f64 v[24:25], v[20:21], v[28:29], 0
	v_fmac_f64_e32 v[22:23], 0.5, v[26:27]
	v_fmac_f64_e32 v[24:25], v[20:21], v[28:29]
	s_mov_b32 s8, 0
	s_mov_b32 s10, 0x55555555
	v_mov_b32_e32 v19, 0
	v_fmac_f64_e32 v[22:23], 0.5, v[26:27]
	v_fmac_f64_e32 v[24:25], v[20:21], v[28:29]
	v_mov_b32_e32 v53, 16
	s_mov_b64 s[6:7], 0
	s_mov_b32 s9, 0x3fd00000
	v_mov_b32_e32 v54, 0xf0
	s_mov_b32 s11, 0x3fd55555
	s_branch .LBB1_506
.LBB1_504:                              ;   in Loop: Header=BB1_506 Depth=1
	s_or_b64 exec, exec, s[14:15]
	v_mov_b32_e32 v56, v55
	v_mov_b32_e32 v55, v67
.LBB1_505:                              ;   in Loop: Header=BB1_506 Depth=1
	s_or_b64 exec, exec, s[12:13]
	v_lshl_add_u32 v72, v56, 3, v54
	v_lshl_add_u32 v55, v55, 3, v54
	buffer_load_dword v56, v72, s[0:3], 0 offen
	buffer_load_dword v57, v72, s[0:3], 0 offen offset:4
	buffer_load_dword v67, v55, s[0:3], 0 offen offset:4
	;; [unrolled: 1-line block ×3, first 2 shown]
	buffer_load_dword v66, v55, s[0:3], 0 offen
	buffer_load_dword v71, v72, s[0:3], 0 offen offset:68
	buffer_load_dword v70, v72, s[0:3], 0 offen offset:64
	;; [unrolled: 1-line block ×3, first 2 shown]
	s_waitcnt vmcnt(20)
	v_add_f64 v[44:45], v[44:45], v[46:47]
	s_waitcnt vmcnt(17)
	v_add_f64 v[28:29], v[44:45], v[28:29]
	;; [unrolled: 2-line block ×3, first 2 shown]
	v_add_f64 v[26:27], v[28:29], v[26:27]
	s_waitcnt vmcnt(10)
	v_add_f64 v[42:43], v[46:47], v[42:43]
	v_fma_f64 v[26:27], v[26:27], s[8:9], -v[0:1]
	s_waitcnt vmcnt(8)
	v_add_f64 v[28:29], v[42:43], v[40:41]
	v_mul_f64 v[26:27], v[32:33], v[26:27]
	v_fma_f64 v[28:29], v[28:29], s[8:9], -v[8:9]
	ds_write2_b64 v58, v[34:35], v[34:35] offset0:20 offset1:22
	v_add_co_u32_e32 v18, vcc, -1, v18
	v_addc_co_u32_e32 v19, vcc, -1, v19, vcc
	v_cmp_eq_u64_e32 vcc, 0, v[18:19]
	s_or_b64 s[6:7], vcc, s[6:7]
	v_add_u32_e32 v53, 1, v53
	s_waitcnt vmcnt(3)
	v_add_f64 v[42:43], v[66:67], -v[0:1]
	v_mul_f64 v[50:51], v[32:33], v[42:43]
	v_add_f64 v[40:41], v[56:57], -v[0:1]
	s_waitcnt vmcnt(0)
	v_add_f64 v[46:47], v[68:69], -v[8:9]
	v_add_f64 v[44:45], v[70:71], -v[8:9]
	v_mul_f64 v[48:49], v[32:33], v[40:41]
	v_mul_f64 v[46:47], v[6:7], v[46:47]
	v_fma_f64 v[66:67], v[32:33], v[40:41], v[26:27]
	v_fma_f64 v[68:69], v[32:33], v[42:43], v[26:27]
	v_mul_f64 v[56:57], v[6:7], v[44:45]
	v_fma_f64 v[70:71], -v[32:33], v[42:43], v[26:27]
	ds_write2_b64 v58, v[48:49], v[50:51] offset1:2
	ds_write2_b64 v58, v[56:57], v[46:47] offset0:10 offset1:12
	v_fma_f64 v[50:51], v[36:37], v[66:67], v[0:1]
	v_fma_f64 v[66:67], v[36:37], v[68:69], v[0:1]
	;; [unrolled: 1-line block ×3, first 2 shown]
	v_fma_f64 v[40:41], v[32:33], v[40:41], -v[26:27]
	v_fmac_f64_e32 v[56:57], v[6:7], v[28:29]
	v_fmac_f64_e32 v[46:47], v[6:7], v[44:45]
	v_fma_f64 v[44:45], v[20:21], v[50:51], 0
	v_fma_f64 v[50:51], v[38:39], v[68:69], v[8:9]
	v_mul_f64 v[68:69], v[70:71], v[68:69]
	v_fma_f64 v[72:73], v[32:33], v[42:43], v[48:49]
	v_fma_f64 v[42:43], v[32:33], v[42:43], -v[48:49]
	v_fma_f64 v[48:49], v[38:39], v[56:57], v[8:9]
	v_fmac_f64_e32 v[68:69], v[40:41], v[56:57]
	v_fma_f64 v[48:49], v[20:21], v[48:49], 0
	v_fmac_f64_e32 v[68:69], v[42:43], v[46:47]
	v_fma_f64 v[72:73], v[36:37], v[72:73], v[0:1]
	v_fma_f64 v[74:75], v[38:39], v[46:47], v[8:9]
	v_fmac_f64_e32 v[44:45], v[20:21], v[66:67]
	v_fmac_f64_e32 v[48:49], v[20:21], v[50:51]
	v_mul_f64 v[40:41], v[68:69], 0.5
	v_fmac_f64_e32 v[44:45], v[20:21], v[72:73]
	v_fmac_f64_e32 v[48:49], v[20:21], v[74:75]
	v_mul_f64 v[40:41], v[40:41], s[10:11]
	v_fma_f64 v[42:43], v[22:23], v[40:41], 0
	v_fma_f64 v[44:45], v[44:45], v[40:41], 0
	;; [unrolled: 1-line block ×4, first 2 shown]
	v_fmac_f64_e32 v[14:15], v[2:3], v[42:43]
	v_fmac_f64_e32 v[16:17], v[2:3], v[44:45]
	;; [unrolled: 1-line block ×4, first 2 shown]
	s_andn2_b64 exec, exec, s[6:7]
	s_cbranch_execz .LBB1_533
.LBB1_506:                              ; =>This Inner Loop Header: Depth=1
	buffer_load_ubyte v56, v53, s[0:3], 0 offen
                                        ; implicit-def: $vgpr66
                                        ; implicit-def: $vgpr40
                                        ; implicit-def: $vgpr57
                                        ; implicit-def: $vgpr41
                                        ; implicit-def: $vgpr67
                                        ; implicit-def: $vgpr43
                                        ; implicit-def: $vgpr42
	s_waitcnt vmcnt(0)
	v_lshrrev_b32_e32 v55, 2, v56
	v_cmp_lt_i32_e32 vcc, 1, v55
	s_and_saveexec_b64 s[12:13], vcc
	s_xor_b64 s[12:13], exec, s[12:13]
	s_cbranch_execz .LBB1_520
; %bb.507:                              ;   in Loop: Header=BB1_506 Depth=1
	v_cmp_lt_i32_e32 vcc, 2, v55
                                        ; implicit-def: $vgpr66
                                        ; implicit-def: $vgpr40
                                        ; implicit-def: $vgpr57
                                        ; implicit-def: $vgpr41
                                        ; implicit-def: $vgpr67
                                        ; implicit-def: $vgpr43
                                        ; implicit-def: $vgpr42
	s_and_saveexec_b64 s[14:15], vcc
	s_xor_b64 s[14:15], exec, s[14:15]
	s_cbranch_execz .LBB1_517
; %bb.508:                              ;   in Loop: Header=BB1_506 Depth=1
	v_cmp_lt_i32_e32 vcc, 3, v55
                                        ; implicit-def: $vgpr66
                                        ; implicit-def: $vgpr40
                                        ; implicit-def: $vgpr57
                                        ; implicit-def: $vgpr41
                                        ; implicit-def: $vgpr67
                                        ; implicit-def: $vgpr43
                                        ; implicit-def: $vgpr42
	s_and_saveexec_b64 s[16:17], vcc
	s_xor_b64 s[16:17], exec, s[16:17]
	s_cbranch_execz .LBB1_514
; %bb.509:                              ;   in Loop: Header=BB1_506 Depth=1
	v_cmp_ne_u32_e32 vcc, 4, v55
                                        ; implicit-def: $sgpr20
                                        ; implicit-def: $sgpr21
                                        ; implicit-def: $sgpr22
                                        ; implicit-def: $sgpr23
	s_and_saveexec_b64 s[18:19], vcc
	s_xor_b64 s[18:19], exec, s[18:19]
; %bb.510:                              ;   in Loop: Header=BB1_506 Depth=1
	s_mov_b32 s23, 4
	s_mov_b32 s22, 6
	;; [unrolled: 1-line block ×4, first 2 shown]
; %bb.511:                              ;   in Loop: Header=BB1_506 Depth=1
	s_or_saveexec_b64 s[18:19], s[18:19]
	v_mov_b32_e32 v66, s20
	v_mov_b32_e32 v57, s21
	v_mov_b32_e32 v67, s22
	v_mov_b32_e32 v55, s23
	v_mov_b32_e32 v40, v59
	v_mov_b32_e32 v41, v65
	v_mov_b32_e32 v43, v61
	v_mov_b32_e32 v42, v64
	s_xor_b64 exec, exec, s[18:19]
; %bb.512:                              ;   in Loop: Header=BB1_506 Depth=1
	v_mov_b32_e32 v42, 0xf0
	v_mov_b32_e32 v66, 2
	;; [unrolled: 1-line block ×8, first 2 shown]
; %bb.513:                              ;   in Loop: Header=BB1_506 Depth=1
	s_or_b64 exec, exec, s[18:19]
.LBB1_514:                              ;   in Loop: Header=BB1_506 Depth=1
	s_andn2_saveexec_b64 s[16:17], s[16:17]
; %bb.515:                              ;   in Loop: Header=BB1_506 Depth=1
	v_mov_b32_e32 v66, 6
	v_mov_b32_e32 v57, 7
	;; [unrolled: 1-line block ×8, first 2 shown]
; %bb.516:                              ;   in Loop: Header=BB1_506 Depth=1
	s_or_b64 exec, exec, s[16:17]
.LBB1_517:                              ;   in Loop: Header=BB1_506 Depth=1
	s_andn2_saveexec_b64 s[14:15], s[14:15]
; %bb.518:                              ;   in Loop: Header=BB1_506 Depth=1
	v_mov_b32_e32 v42, 0xf0
	v_mov_b32_e32 v66, 1
	;; [unrolled: 1-line block ×8, first 2 shown]
; %bb.519:                              ;   in Loop: Header=BB1_506 Depth=1
	s_or_b64 exec, exec, s[14:15]
.LBB1_520:                              ;   in Loop: Header=BB1_506 Depth=1
	s_andn2_saveexec_b64 s[12:13], s[12:13]
	s_cbranch_execz .LBB1_524
; %bb.521:                              ;   in Loop: Header=BB1_506 Depth=1
	v_cmp_lt_i32_e32 vcc, 0, v55
	v_mov_b32_e32 v42, 0xf0
	v_mov_b32_e32 v66, 4
	;; [unrolled: 1-line block ×7, first 2 shown]
	s_and_saveexec_b64 s[14:15], vcc
; %bb.522:                              ;   in Loop: Header=BB1_506 Depth=1
	v_mov_b32_e32 v66, 3
	v_mov_b32_e32 v57, 7
	;; [unrolled: 1-line block ×8, first 2 shown]
; %bb.523:                              ;   in Loop: Header=BB1_506 Depth=1
	s_or_b64 exec, exec, s[14:15]
.LBB1_524:                              ;   in Loop: Header=BB1_506 Depth=1
	s_or_b64 exec, exec, s[12:13]
	v_lshl_add_u32 v68, v55, 3, v52
	buffer_load_dword v45, v42, s[0:3], 0 offen offset:4
	buffer_load_dword v44, v42, s[0:3], 0 offen
	buffer_load_dword v47, v43, s[0:3], 0 offen offset:4
	buffer_load_dword v46, v43, s[0:3], 0 offen
	;; [unrolled: 2-line block ×3, first 2 shown]
	buffer_load_dword v28, v41, s[0:3], 0 offen
	buffer_load_dword v27, v40, s[0:3], 0 offen offset:4
	v_lshl_add_u32 v69, v67, 3, v52
	v_lshl_add_u32 v70, v57, 3, v52
	;; [unrolled: 1-line block ×3, first 2 shown]
	buffer_load_dword v48, v68, s[0:3], 0 offen
	buffer_load_dword v49, v68, s[0:3], 0 offen offset:4
	buffer_load_dword v50, v69, s[0:3], 0 offen
	buffer_load_dword v51, v69, s[0:3], 0 offen offset:4
	;; [unrolled: 2-line block ×4, first 2 shown]
	v_and_b32_e32 v68, 3, v56
	v_cmp_lt_i32_e32 vcc, 1, v68
                                        ; implicit-def: $vgpr56
	s_and_saveexec_b64 s[12:13], vcc
	s_xor_b64 s[12:13], exec, s[12:13]
	s_cbranch_execz .LBB1_530
; %bb.525:                              ;   in Loop: Header=BB1_506 Depth=1
	v_cmp_lt_i32_e32 vcc, 2, v68
	s_and_saveexec_b64 s[14:15], vcc
	s_xor_b64 s[14:15], exec, s[14:15]
; %bb.526:                              ;   in Loop: Header=BB1_506 Depth=1
                                        ; implicit-def: $vgpr57
; %bb.527:                              ;   in Loop: Header=BB1_506 Depth=1
	s_or_saveexec_b64 s[14:15], s[14:15]
	v_mov_b32_e32 v56, v66
	s_xor_b64 exec, exec, s[14:15]
; %bb.528:                              ;   in Loop: Header=BB1_506 Depth=1
	v_mov_b32_e32 v56, v57
	v_mov_b32_e32 v55, v66
; %bb.529:                              ;   in Loop: Header=BB1_506 Depth=1
	s_or_b64 exec, exec, s[14:15]
                                        ; implicit-def: $vgpr67
                                        ; implicit-def: $vgpr57
                                        ; implicit-def: $vgpr68
.LBB1_530:                              ;   in Loop: Header=BB1_506 Depth=1
	s_andn2_saveexec_b64 s[12:13], s[12:13]
	s_cbranch_execz .LBB1_505
; %bb.531:                              ;   in Loop: Header=BB1_506 Depth=1
	v_cmp_eq_u32_e32 vcc, 1, v68
	s_and_saveexec_b64 s[14:15], vcc
	s_cbranch_execz .LBB1_504
; %bb.532:                              ;   in Loop: Header=BB1_506 Depth=1
	v_mov_b32_e32 v55, v67
	v_mov_b32_e32 v67, v57
	s_branch .LBB1_504
.LBB1_533:
	s_or_b64 exec, exec, s[6:7]
	v_mul_f64 v[18:19], v[6:7], v[28:29]
	ds_write2_b64 v58, v[26:27], v[18:19] offset0:1 offset1:11
	ds_write_b64 v58, v[34:35] offset:168
.LBB1_534:
	s_or_b64 exec, exec, s[4:5]
	buffer_load_dword v19, off, s[0:3], 0
	s_waitcnt vmcnt(0)
	v_and_b32_e32 v18, 1, v19
	v_cmp_eq_u32_e32 vcc, 1, v18
	v_mov_b32_e32 v18, 0
	s_and_saveexec_b64 s[4:5], vcc
	s_cbranch_execz .LBB1_536
; %bb.535:
	v_mov_b32_e32 v18, 0
	buffer_store_byte v18, off, s[0:3], 0 offset:16
	v_mov_b32_e32 v18, 1
.LBB1_536:
	s_or_b64 exec, exec, s[4:5]
	v_and_b32_e32 v20, 2, v19
	v_cmp_ne_u32_e32 vcc, 0, v20
	s_and_saveexec_b64 s[4:5], vcc
	s_cbranch_execz .LBB1_538
; %bb.537:
	v_add_u32_e32 v20, 1, v18
	v_or_b32_e32 v18, 16, v18
	v_mov_b32_e32 v21, 1
	buffer_store_byte v21, v18, s[0:3], 0 offen
	v_mov_b32_e32 v18, v20
.LBB1_538:
	s_or_b64 exec, exec, s[4:5]
	v_and_b32_e32 v20, 4, v19
	v_cmp_ne_u32_e32 vcc, 0, v20
	s_and_saveexec_b64 s[4:5], vcc
	s_cbranch_execz .LBB1_540
; %bb.539:
	v_add_u32_e32 v20, 1, v18
	v_or_b32_e32 v18, 16, v18
	v_mov_b32_e32 v21, 2
	buffer_store_byte v21, v18, s[0:3], 0 offen
	v_mov_b32_e32 v18, v20
.LBB1_540:
	;; [unrolled: 12-line block ×4, first 2 shown]
	s_or_b64 exec, exec, s[4:5]
	v_and_b32_e32 v20, 32, v19
	v_cmp_ne_u32_e32 vcc, 0, v20
	s_and_saveexec_b64 s[4:5], vcc
	s_cbranch_execz .LBB1_546
; %bb.545:
	v_add_u32_e32 v20, 1, v18
	v_add_u32_e32 v18, 16, v18
	v_mov_b32_e32 v21, 5
	buffer_store_byte v21, v18, s[0:3], 0 offen
	v_mov_b32_e32 v18, v20
.LBB1_546:
	s_or_b64 exec, exec, s[4:5]
	v_and_b32_e32 v20, 64, v19
	v_cmp_ne_u32_e32 vcc, 0, v20
	s_and_saveexec_b64 s[4:5], vcc
	s_cbranch_execz .LBB1_548
; %bb.547:
	v_add_u32_e32 v20, 1, v18
	v_add_u32_e32 v18, 16, v18
	v_mov_b32_e32 v21, 6
	buffer_store_byte v21, v18, s[0:3], 0 offen
	v_mov_b32_e32 v18, v20
.LBB1_548:
	;; [unrolled: 12-line block ×19, first 2 shown]
	s_or_b64 exec, exec, s[4:5]
	v_cmp_ne_u32_e32 vcc, 0, v18
	s_and_saveexec_b64 s[4:5], vcc
	s_cbranch_execz .LBB1_614
; %bb.583:
	s_mov_b32 s8, 0
	s_mov_b32 s10, 0x55555555
	v_mov_b32_e32 v19, 0
	v_mov_b32_e32 v52, 16
	s_mov_b64 s[6:7], 0
	v_mov_b32_e32 v53, 0xf0
	s_mov_b32 s9, 0x3fd00000
	s_mov_b32 s11, 0x3fd55555
	s_branch .LBB1_586
.LBB1_584:                              ;   in Loop: Header=BB1_586 Depth=1
	s_or_b64 exec, exec, s[14:15]
	v_mov_b32_e32 v55, v54
	v_mov_b32_e32 v54, v66
.LBB1_585:                              ;   in Loop: Header=BB1_586 Depth=1
	s_or_b64 exec, exec, s[12:13]
	v_lshl_add_u32 v74, v55, 3, v53
	v_lshl_add_u32 v75, v54, 3, v53
	buffer_load_dword v56, v74, s[0:3], 0 offen
	buffer_load_dword v57, v74, s[0:3], 0 offen offset:4
	buffer_load_dword v54, v75, s[0:3], 0 offen
	buffer_load_dword v55, v75, s[0:3], 0 offen offset:4
	buffer_load_dword v66, v74, s[0:3], 0 offen offset:128
	;; [unrolled: 1-line block ×9, first 2 shown]
	s_waitcnt vmcnt(32)
	v_add_f64 v[20:21], v[20:21], v[26:27]
	s_waitcnt vmcnt(19)
	v_add_f64 v[26:27], v[28:29], v[42:43]
	;; [unrolled: 2-line block ×3, first 2 shown]
	v_add_f64 v[20:21], v[20:21], v[24:25]
	v_add_f64 v[24:25], v[26:27], v[34:35]
	s_waitcnt vmcnt(12)
	v_add_f64 v[26:27], v[28:29], v[50:51]
	v_add_f64 v[20:21], v[20:21], v[22:23]
	;; [unrolled: 1-line block ×4, first 2 shown]
	v_fma_f64 v[26:27], v[20:21], s[8:9], -v[0:1]
	v_fma_f64 v[22:23], v[22:23], s[8:9], -v[8:9]
	;; [unrolled: 1-line block ×3, first 2 shown]
	v_mul_f64 v[24:25], v[32:33], v[26:27]
	v_add_co_u32_e32 v18, vcc, -1, v18
	v_addc_co_u32_e32 v19, vcc, -1, v19, vcc
	v_cmp_eq_u64_e32 vcc, 0, v[18:19]
	s_or_b64 s[6:7], vcc, s[6:7]
	v_add_u32_e32 v52, 1, v52
	s_waitcnt vmcnt(8)
	v_add_f64 v[28:29], v[54:55], -v[0:1]
	v_mul_f64 v[48:49], v[32:33], v[28:29]
	s_waitcnt vmcnt(5)
	v_add_f64 v[34:35], v[68:69], -v[8:9]
	v_mul_f64 v[50:51], v[6:7], v[34:35]
	v_fma_f64 v[68:69], v[32:33], v[28:29], v[24:25]
	s_waitcnt vmcnt(2)
	v_add_f64 v[40:41], v[72:73], -v[8:9]
	v_add_f64 v[26:27], v[56:57], -v[0:1]
	s_waitcnt vmcnt(1)
	v_add_f64 v[42:43], v[66:67], -v[4:5]
	s_waitcnt vmcnt(0)
	v_add_f64 v[44:45], v[70:71], -v[4:5]
	v_mul_f64 v[40:41], v[6:7], v[40:41]
	v_mul_f64 v[46:47], v[32:33], v[26:27]
	ds_write2_b64 v58, v[42:43], v[44:45] offset0:20 offset1:22
	v_add_f64 v[54:55], v[20:21], v[42:43]
	v_fma_f64 v[56:57], v[32:33], v[26:27], v[24:25]
	v_add_f64 v[66:67], v[20:21], v[44:45]
	v_add_f64 v[42:43], v[42:43], v[44:45]
	v_fma_f64 v[44:45], -v[32:33], v[28:29], v[24:25]
	v_fma_f64 v[72:73], v[6:7], v[22:23], v[40:41]
	v_fma_f64 v[26:27], v[32:33], v[26:27], -v[24:25]
	ds_write2_b64 v58, v[46:47], v[48:49] offset1:2
	ds_write2_b64 v58, v[50:51], v[40:41] offset0:10 offset1:12
	v_mul_f64 v[48:49], v[54:55], 0.5
	v_fma_f64 v[56:57], v[36:37], v[56:57], v[0:1]
	v_fmac_f64_e32 v[50:51], v[6:7], v[22:23]
	v_mul_f64 v[44:45], v[44:45], v[72:73]
	v_fma_f64 v[54:55], v[54:55], 0.5, 0
	v_mul_f64 v[70:71], v[66:67], 0.5
	v_fma_f64 v[76:77], v[32:33], v[28:29], v[46:47]
	v_fmac_f64_e32 v[40:41], v[6:7], v[34:35]
	v_fma_f64 v[28:29], v[32:33], v[28:29], -v[46:47]
	v_fma_f64 v[34:35], v[56:57], v[48:49], 0
	v_fma_f64 v[46:47], v[38:39], v[50:51], v[8:9]
	v_fma_f64 v[56:57], 0.5, v[48:49], v[4:5]
	v_fmac_f64_e32 v[44:45], v[26:27], v[50:51]
	v_fma_f64 v[68:69], v[36:37], v[68:69], v[0:1]
	v_mul_f64 v[74:75], v[42:43], 0.5
	v_fmac_f64_e32 v[54:55], 0.5, v[66:67]
	v_fma_f64 v[66:67], v[38:39], v[72:73], v[8:9]
	v_fma_f64 v[78:79], 0.5, v[70:71], v[4:5]
	v_fma_f64 v[46:47], v[46:47], v[48:49], 0
	v_fma_f64 v[48:49], v[48:49], v[56:57], 0
	v_fmac_f64_e32 v[44:45], v[28:29], v[40:41]
	v_fma_f64 v[76:77], v[36:37], v[76:77], v[0:1]
	v_fma_f64 v[80:81], v[38:39], v[40:41], v[8:9]
	v_fma_f64 v[82:83], 0.5, v[74:75], v[4:5]
	v_fmac_f64_e32 v[34:35], v[68:69], v[70:71]
	v_fmac_f64_e32 v[46:47], v[66:67], v[70:71]
	;; [unrolled: 1-line block ×3, first 2 shown]
	v_mul_f64 v[26:27], v[44:45], 0.5
	v_fmac_f64_e32 v[54:55], 0.5, v[42:43]
	v_fmac_f64_e32 v[34:35], v[76:77], v[74:75]
	v_fmac_f64_e32 v[46:47], v[80:81], v[74:75]
	;; [unrolled: 1-line block ×3, first 2 shown]
	v_mul_f64 v[26:27], v[26:27], s[10:11]
	v_fma_f64 v[28:29], v[26:27], v[54:55], 0
	v_fma_f64 v[34:35], v[26:27], v[34:35], 0
	;; [unrolled: 1-line block ×4, first 2 shown]
	v_fmac_f64_e32 v[14:15], v[2:3], v[28:29]
	v_fmac_f64_e32 v[16:17], v[2:3], v[34:35]
	;; [unrolled: 1-line block ×4, first 2 shown]
	s_andn2_b64 exec, exec, s[6:7]
	s_cbranch_execz .LBB1_613
.LBB1_586:                              ; =>This Inner Loop Header: Depth=1
	buffer_load_ubyte v55, v52, s[0:3], 0 offen
                                        ; implicit-def: $vgpr57
                                        ; implicit-def: $vgpr28
                                        ; implicit-def: $vgpr56
                                        ; implicit-def: $vgpr29
                                        ; implicit-def: $vgpr66
                                        ; implicit-def: $vgpr35
                                        ; implicit-def: $vgpr34
	s_waitcnt vmcnt(0)
	v_lshrrev_b32_e32 v54, 2, v55
	v_cmp_lt_i32_e32 vcc, 1, v54
	s_and_saveexec_b64 s[12:13], vcc
	s_xor_b64 s[12:13], exec, s[12:13]
	s_cbranch_execz .LBB1_600
; %bb.587:                              ;   in Loop: Header=BB1_586 Depth=1
	v_cmp_lt_i32_e32 vcc, 2, v54
                                        ; implicit-def: $vgpr57
                                        ; implicit-def: $vgpr28
                                        ; implicit-def: $vgpr56
                                        ; implicit-def: $vgpr29
                                        ; implicit-def: $vgpr66
                                        ; implicit-def: $vgpr35
                                        ; implicit-def: $vgpr34
	s_and_saveexec_b64 s[14:15], vcc
	s_xor_b64 s[14:15], exec, s[14:15]
	s_cbranch_execz .LBB1_597
; %bb.588:                              ;   in Loop: Header=BB1_586 Depth=1
	v_cmp_lt_i32_e32 vcc, 3, v54
                                        ; implicit-def: $vgpr57
                                        ; implicit-def: $vgpr28
                                        ; implicit-def: $vgpr56
                                        ; implicit-def: $vgpr29
                                        ; implicit-def: $vgpr66
                                        ; implicit-def: $vgpr35
                                        ; implicit-def: $vgpr34
	s_and_saveexec_b64 s[16:17], vcc
	s_xor_b64 s[16:17], exec, s[16:17]
	s_cbranch_execz .LBB1_594
; %bb.589:                              ;   in Loop: Header=BB1_586 Depth=1
	v_cmp_ne_u32_e32 vcc, 4, v54
                                        ; implicit-def: $sgpr20
                                        ; implicit-def: $sgpr21
                                        ; implicit-def: $sgpr22
                                        ; implicit-def: $sgpr23
	s_and_saveexec_b64 s[18:19], vcc
	s_xor_b64 s[18:19], exec, s[18:19]
; %bb.590:                              ;   in Loop: Header=BB1_586 Depth=1
	s_mov_b32 s23, 4
	s_mov_b32 s22, 6
	;; [unrolled: 1-line block ×4, first 2 shown]
; %bb.591:                              ;   in Loop: Header=BB1_586 Depth=1
	s_or_saveexec_b64 s[18:19], s[18:19]
	v_mov_b32_e32 v57, s20
	v_mov_b32_e32 v56, s21
	;; [unrolled: 1-line block ×8, first 2 shown]
	s_xor_b64 exec, exec, s[18:19]
; %bb.592:                              ;   in Loop: Header=BB1_586 Depth=1
	v_mov_b32_e32 v34, 0xf0
	v_mov_b32_e32 v57, 2
	;; [unrolled: 1-line block ×8, first 2 shown]
; %bb.593:                              ;   in Loop: Header=BB1_586 Depth=1
	s_or_b64 exec, exec, s[18:19]
.LBB1_594:                              ;   in Loop: Header=BB1_586 Depth=1
	s_andn2_saveexec_b64 s[16:17], s[16:17]
; %bb.595:                              ;   in Loop: Header=BB1_586 Depth=1
	v_mov_b32_e32 v57, 6
	v_mov_b32_e32 v56, 7
	;; [unrolled: 1-line block ×8, first 2 shown]
; %bb.596:                              ;   in Loop: Header=BB1_586 Depth=1
	s_or_b64 exec, exec, s[16:17]
.LBB1_597:                              ;   in Loop: Header=BB1_586 Depth=1
	s_andn2_saveexec_b64 s[14:15], s[14:15]
; %bb.598:                              ;   in Loop: Header=BB1_586 Depth=1
	v_mov_b32_e32 v34, 0xf0
	v_mov_b32_e32 v57, 1
	;; [unrolled: 1-line block ×8, first 2 shown]
; %bb.599:                              ;   in Loop: Header=BB1_586 Depth=1
	s_or_b64 exec, exec, s[14:15]
.LBB1_600:                              ;   in Loop: Header=BB1_586 Depth=1
	s_andn2_saveexec_b64 s[12:13], s[12:13]
	s_cbranch_execz .LBB1_604
; %bb.601:                              ;   in Loop: Header=BB1_586 Depth=1
	v_cmp_lt_i32_e32 vcc, 0, v54
	v_mov_b32_e32 v34, 0xf0
	v_mov_b32_e32 v57, 4
	;; [unrolled: 1-line block ×7, first 2 shown]
	s_and_saveexec_b64 s[14:15], vcc
; %bb.602:                              ;   in Loop: Header=BB1_586 Depth=1
	v_mov_b32_e32 v57, 3
	v_mov_b32_e32 v56, 7
	;; [unrolled: 1-line block ×8, first 2 shown]
; %bb.603:                              ;   in Loop: Header=BB1_586 Depth=1
	s_or_b64 exec, exec, s[14:15]
.LBB1_604:                              ;   in Loop: Header=BB1_586 Depth=1
	s_or_b64 exec, exec, s[12:13]
	v_lshl_add_u32 v67, v54, 3, v53
	v_lshl_add_u32 v68, v66, 3, v53
	;; [unrolled: 1-line block ×4, first 2 shown]
	buffer_load_dword v21, v34, s[0:3], 0 offen offset:4
	buffer_load_dword v20, v34, s[0:3], 0 offen
	buffer_load_dword v27, v35, s[0:3], 0 offen offset:4
	buffer_load_dword v26, v35, s[0:3], 0 offen
	;; [unrolled: 2-line block ×3, first 2 shown]
	buffer_load_dword v24, v29, s[0:3], 0 offen
	buffer_load_dword v23, v28, s[0:3], 0 offen offset:4
	s_nop 0
	buffer_load_dword v28, v67, s[0:3], 0 offen offset:64
	buffer_load_dword v29, v67, s[0:3], 0 offen offset:68
	;; [unrolled: 1-line block ×16, first 2 shown]
	v_and_b32_e32 v67, 3, v55
	v_cmp_lt_i32_e32 vcc, 1, v67
                                        ; implicit-def: $vgpr55
	s_and_saveexec_b64 s[12:13], vcc
	s_xor_b64 s[12:13], exec, s[12:13]
	s_cbranch_execz .LBB1_610
; %bb.605:                              ;   in Loop: Header=BB1_586 Depth=1
	v_cmp_lt_i32_e32 vcc, 2, v67
	s_and_saveexec_b64 s[14:15], vcc
	s_xor_b64 s[14:15], exec, s[14:15]
; %bb.606:                              ;   in Loop: Header=BB1_586 Depth=1
                                        ; implicit-def: $vgpr56
; %bb.607:                              ;   in Loop: Header=BB1_586 Depth=1
	s_or_saveexec_b64 s[14:15], s[14:15]
	v_mov_b32_e32 v55, v57
	s_xor_b64 exec, exec, s[14:15]
; %bb.608:                              ;   in Loop: Header=BB1_586 Depth=1
	v_mov_b32_e32 v55, v56
	v_mov_b32_e32 v54, v57
; %bb.609:                              ;   in Loop: Header=BB1_586 Depth=1
	s_or_b64 exec, exec, s[14:15]
                                        ; implicit-def: $vgpr66
                                        ; implicit-def: $vgpr56
                                        ; implicit-def: $vgpr67
.LBB1_610:                              ;   in Loop: Header=BB1_586 Depth=1
	s_andn2_saveexec_b64 s[12:13], s[12:13]
	s_cbranch_execz .LBB1_585
; %bb.611:                              ;   in Loop: Header=BB1_586 Depth=1
	v_cmp_eq_u32_e32 vcc, 1, v67
	s_and_saveexec_b64 s[14:15], vcc
	s_cbranch_execz .LBB1_584
; %bb.612:                              ;   in Loop: Header=BB1_586 Depth=1
	v_mov_b32_e32 v54, v66
	v_mov_b32_e32 v66, v56
	s_branch .LBB1_584
.LBB1_613:
	s_or_b64 exec, exec, s[6:7]
	v_mul_f64 v[0:1], v[6:7], v[22:23]
	ds_write2_b64 v58, v[24:25], v[0:1] offset0:1 offset1:11
	ds_write_b64 v58, v[20:21] offset:168
.LBB1_614:
	s_or_b64 exec, exec, s[4:5]
	v_lshlrev_b64 v[0:1], 5, v[30:31]
	v_mov_b32_e32 v2, s37
	v_add_co_u32_e32 v0, vcc, s36, v0
	v_addc_co_u32_e32 v1, vcc, v2, v1, vcc
	global_store_dwordx4 v[0:1], v[14:17], off
	global_store_dwordx4 v[0:1], v[10:13], off offset:16
.LBB1_615:
	s_endpgm
	.section	.rodata,"a",@progbits
	.p2align	6, 0x0
	.amdhsa_kernel _ZN8rajaperf17lambda_hip_forallILm64EZNS_4apps13INTSC_HEXRECT17runHipVariantImplILm64EEEvNS_9VariantIDEEUllE_EEvllT0_
		.amdhsa_group_segment_fixed_size 15872
		.amdhsa_private_segment_fixed_size 448
		.amdhsa_kernarg_size 88
		.amdhsa_user_sgpr_count 8
		.amdhsa_user_sgpr_private_segment_buffer 1
		.amdhsa_user_sgpr_dispatch_ptr 0
		.amdhsa_user_sgpr_queue_ptr 0
		.amdhsa_user_sgpr_kernarg_segment_ptr 1
		.amdhsa_user_sgpr_dispatch_id 0
		.amdhsa_user_sgpr_flat_scratch_init 1
		.amdhsa_user_sgpr_kernarg_preload_length 0
		.amdhsa_user_sgpr_kernarg_preload_offset 0
		.amdhsa_user_sgpr_private_segment_size 0
		.amdhsa_uses_dynamic_stack 0
		.amdhsa_system_sgpr_private_segment_wavefront_offset 1
		.amdhsa_system_sgpr_workgroup_id_x 1
		.amdhsa_system_sgpr_workgroup_id_y 0
		.amdhsa_system_sgpr_workgroup_id_z 0
		.amdhsa_system_sgpr_workgroup_info 0
		.amdhsa_system_vgpr_workitem_id 0
		.amdhsa_next_free_vgpr 125
		.amdhsa_next_free_sgpr 52
		.amdhsa_accum_offset 128
		.amdhsa_reserve_vcc 1
		.amdhsa_reserve_flat_scratch 1
		.amdhsa_float_round_mode_32 0
		.amdhsa_float_round_mode_16_64 0
		.amdhsa_float_denorm_mode_32 3
		.amdhsa_float_denorm_mode_16_64 3
		.amdhsa_dx10_clamp 1
		.amdhsa_ieee_mode 1
		.amdhsa_fp16_overflow 0
		.amdhsa_tg_split 0
		.amdhsa_exception_fp_ieee_invalid_op 0
		.amdhsa_exception_fp_denorm_src 0
		.amdhsa_exception_fp_ieee_div_zero 0
		.amdhsa_exception_fp_ieee_overflow 0
		.amdhsa_exception_fp_ieee_underflow 0
		.amdhsa_exception_fp_ieee_inexact 0
		.amdhsa_exception_int_div_zero 0
	.end_amdhsa_kernel
	.section	.text._ZN8rajaperf17lambda_hip_forallILm64EZNS_4apps13INTSC_HEXRECT17runHipVariantImplILm64EEEvNS_9VariantIDEEUllE_EEvllT0_,"axG",@progbits,_ZN8rajaperf17lambda_hip_forallILm64EZNS_4apps13INTSC_HEXRECT17runHipVariantImplILm64EEEvNS_9VariantIDEEUllE_EEvllT0_,comdat
.Lfunc_end1:
	.size	_ZN8rajaperf17lambda_hip_forallILm64EZNS_4apps13INTSC_HEXRECT17runHipVariantImplILm64EEEvNS_9VariantIDEEUllE_EEvllT0_, .Lfunc_end1-_ZN8rajaperf17lambda_hip_forallILm64EZNS_4apps13INTSC_HEXRECT17runHipVariantImplILm64EEEvNS_9VariantIDEEUllE_EEvllT0_
                                        ; -- End function
	.section	.AMDGPU.csdata,"",@progbits
; Kernel info:
; codeLenInByte = 29928
; NumSgprs: 58
; NumVgprs: 125
; NumAgprs: 0
; TotalNumVgprs: 125
; ScratchSize: 448
; MemoryBound: 0
; FloatMode: 240
; IeeeMode: 1
; LDSByteSize: 15872 bytes/workgroup (compile time only)
; SGPRBlocks: 7
; VGPRBlocks: 15
; NumSGPRsForWavesPerEU: 58
; NumVGPRsForWavesPerEU: 125
; AccumOffset: 128
; Occupancy: 1
; WaveLimiterHint : 1
; COMPUTE_PGM_RSRC2:SCRATCH_EN: 1
; COMPUTE_PGM_RSRC2:USER_SGPR: 8
; COMPUTE_PGM_RSRC2:TRAP_HANDLER: 0
; COMPUTE_PGM_RSRC2:TGID_X_EN: 1
; COMPUTE_PGM_RSRC2:TGID_Y_EN: 0
; COMPUTE_PGM_RSRC2:TGID_Z_EN: 0
; COMPUTE_PGM_RSRC2:TIDIG_COMP_CNT: 0
; COMPUTE_PGM_RSRC3_GFX90A:ACCUM_OFFSET: 31
; COMPUTE_PGM_RSRC3_GFX90A:TG_SPLIT: 0
	.section	.text._ZN4RAJA6policy3hip4impl18forallp_hip_kernelINS1_8hip_execINS_17iteration_mapping6DirectENS_3hip11IndexGlobalILNS_9named_dimE0ELi64ELi0EEENS7_40AvoidDeviceMaxThreadOccupancyConcretizerINS7_34FractionOffsetOccupancyConcretizerINS_8FractionImLm1ELm1EEELln1EEEEELb1EEENS_9Iterators16numeric_iteratorIllPlEEZN8rajaperf4apps13INTSC_HEXRECT17runHipVariantImplILm64EEEvNSM_9VariantIDEEUllE0_lNS_4expt15ForallParamPackIJEEES6_SA_TnNSt9enable_ifIXaasr3std10is_base_ofINS5_10DirectBaseET4_EE5valuegtsrT5_10block_sizeLi0EEmE4typeELm64EEEvT1_T0_T2_T3_,"axG",@progbits,_ZN4RAJA6policy3hip4impl18forallp_hip_kernelINS1_8hip_execINS_17iteration_mapping6DirectENS_3hip11IndexGlobalILNS_9named_dimE0ELi64ELi0EEENS7_40AvoidDeviceMaxThreadOccupancyConcretizerINS7_34FractionOffsetOccupancyConcretizerINS_8FractionImLm1ELm1EEELln1EEEEELb1EEENS_9Iterators16numeric_iteratorIllPlEEZN8rajaperf4apps13INTSC_HEXRECT17runHipVariantImplILm64EEEvNSM_9VariantIDEEUllE0_lNS_4expt15ForallParamPackIJEEES6_SA_TnNSt9enable_ifIXaasr3std10is_base_ofINS5_10DirectBaseET4_EE5valuegtsrT5_10block_sizeLi0EEmE4typeELm64EEEvT1_T0_T2_T3_,comdat
	.protected	_ZN4RAJA6policy3hip4impl18forallp_hip_kernelINS1_8hip_execINS_17iteration_mapping6DirectENS_3hip11IndexGlobalILNS_9named_dimE0ELi64ELi0EEENS7_40AvoidDeviceMaxThreadOccupancyConcretizerINS7_34FractionOffsetOccupancyConcretizerINS_8FractionImLm1ELm1EEELln1EEEEELb1EEENS_9Iterators16numeric_iteratorIllPlEEZN8rajaperf4apps13INTSC_HEXRECT17runHipVariantImplILm64EEEvNSM_9VariantIDEEUllE0_lNS_4expt15ForallParamPackIJEEES6_SA_TnNSt9enable_ifIXaasr3std10is_base_ofINS5_10DirectBaseET4_EE5valuegtsrT5_10block_sizeLi0EEmE4typeELm64EEEvT1_T0_T2_T3_ ; -- Begin function _ZN4RAJA6policy3hip4impl18forallp_hip_kernelINS1_8hip_execINS_17iteration_mapping6DirectENS_3hip11IndexGlobalILNS_9named_dimE0ELi64ELi0EEENS7_40AvoidDeviceMaxThreadOccupancyConcretizerINS7_34FractionOffsetOccupancyConcretizerINS_8FractionImLm1ELm1EEELln1EEEEELb1EEENS_9Iterators16numeric_iteratorIllPlEEZN8rajaperf4apps13INTSC_HEXRECT17runHipVariantImplILm64EEEvNSM_9VariantIDEEUllE0_lNS_4expt15ForallParamPackIJEEES6_SA_TnNSt9enable_ifIXaasr3std10is_base_ofINS5_10DirectBaseET4_EE5valuegtsrT5_10block_sizeLi0EEmE4typeELm64EEEvT1_T0_T2_T3_
	.globl	_ZN4RAJA6policy3hip4impl18forallp_hip_kernelINS1_8hip_execINS_17iteration_mapping6DirectENS_3hip11IndexGlobalILNS_9named_dimE0ELi64ELi0EEENS7_40AvoidDeviceMaxThreadOccupancyConcretizerINS7_34FractionOffsetOccupancyConcretizerINS_8FractionImLm1ELm1EEELln1EEEEELb1EEENS_9Iterators16numeric_iteratorIllPlEEZN8rajaperf4apps13INTSC_HEXRECT17runHipVariantImplILm64EEEvNSM_9VariantIDEEUllE0_lNS_4expt15ForallParamPackIJEEES6_SA_TnNSt9enable_ifIXaasr3std10is_base_ofINS5_10DirectBaseET4_EE5valuegtsrT5_10block_sizeLi0EEmE4typeELm64EEEvT1_T0_T2_T3_
	.p2align	8
	.type	_ZN4RAJA6policy3hip4impl18forallp_hip_kernelINS1_8hip_execINS_17iteration_mapping6DirectENS_3hip11IndexGlobalILNS_9named_dimE0ELi64ELi0EEENS7_40AvoidDeviceMaxThreadOccupancyConcretizerINS7_34FractionOffsetOccupancyConcretizerINS_8FractionImLm1ELm1EEELln1EEEEELb1EEENS_9Iterators16numeric_iteratorIllPlEEZN8rajaperf4apps13INTSC_HEXRECT17runHipVariantImplILm64EEEvNSM_9VariantIDEEUllE0_lNS_4expt15ForallParamPackIJEEES6_SA_TnNSt9enable_ifIXaasr3std10is_base_ofINS5_10DirectBaseET4_EE5valuegtsrT5_10block_sizeLi0EEmE4typeELm64EEEvT1_T0_T2_T3_,@function
_ZN4RAJA6policy3hip4impl18forallp_hip_kernelINS1_8hip_execINS_17iteration_mapping6DirectENS_3hip11IndexGlobalILNS_9named_dimE0ELi64ELi0EEENS7_40AvoidDeviceMaxThreadOccupancyConcretizerINS7_34FractionOffsetOccupancyConcretizerINS_8FractionImLm1ELm1EEELln1EEEEELb1EEENS_9Iterators16numeric_iteratorIllPlEEZN8rajaperf4apps13INTSC_HEXRECT17runHipVariantImplILm64EEEvNSM_9VariantIDEEUllE0_lNS_4expt15ForallParamPackIJEEES6_SA_TnNSt9enable_ifIXaasr3std10is_base_ofINS5_10DirectBaseET4_EE5valuegtsrT5_10block_sizeLi0EEmE4typeELm64EEEvT1_T0_T2_T3_: ; @_ZN4RAJA6policy3hip4impl18forallp_hip_kernelINS1_8hip_execINS_17iteration_mapping6DirectENS_3hip11IndexGlobalILNS_9named_dimE0ELi64ELi0EEENS7_40AvoidDeviceMaxThreadOccupancyConcretizerINS7_34FractionOffsetOccupancyConcretizerINS_8FractionImLm1ELm1EEELln1EEEEELb1EEENS_9Iterators16numeric_iteratorIllPlEEZN8rajaperf4apps13INTSC_HEXRECT17runHipVariantImplILm64EEEvNSM_9VariantIDEEUllE0_lNS_4expt15ForallParamPackIJEEES6_SA_TnNSt9enable_ifIXaasr3std10is_base_ofINS5_10DirectBaseET4_EE5valuegtsrT5_10block_sizeLi0EEmE4typeELm64EEEvT1_T0_T2_T3_
; %bb.0:
	s_add_u32 flat_scratch_lo, s6, s9
	s_load_dwordx4 s[12:15], s[4:5], 0x48
	s_addc_u32 flat_scratch_hi, s7, 0
	s_add_u32 s0, s0, s9
	s_mov_b32 s9, 0
	s_addc_u32 s1, s1, 0
	s_lshl_b64 s[6:7], s[8:9], 6
	v_or_b32_e32 v0, s6, v0
	v_mov_b32_e32 v1, s7
	s_waitcnt lgkmcnt(0)
	v_cmp_gt_i64_e32 vcc, s[14:15], v[0:1]
	s_and_saveexec_b64 s[6:7], vcc
	s_cbranch_execz .LBB2_615
; %bb.1:
	s_load_dwordx2 s[6:7], s[4:5], 0x0
	v_mov_b32_e32 v2, s13
	v_add_co_u32_e32 v30, vcc, s12, v0
	v_addc_co_u32_e32 v31, vcc, v1, v2, vcc
	s_waitcnt lgkmcnt(0)
	v_cmp_gt_i64_e32 vcc, s[6:7], v[30:31]
	s_and_b64 exec, exec, vcc
	s_cbranch_execz .LBB2_615
; %bb.2:
	s_load_dwordx16 s[36:51], s[4:5], 0x8
	v_lshlrev_b64 v[4:5], 2, v[30:31]
	s_waitcnt lgkmcnt(0)
	v_mov_b32_e32 v1, s39
	v_add_co_u32_e32 v0, vcc, s38, v4
	v_addc_co_u32_e32 v1, vcc, v1, v5, vcc
	global_load_dword v0, v[0:1], off
	v_mov_b32_e32 v2, s41
	v_mov_b32_e32 v18, s43
	v_mov_b32_e32 v19, s45
	v_mov_b32_e32 v20, s47
	v_mov_b32_e32 v21, s43
	v_mov_b32_e32 v23, s45
	v_mov_b32_e32 v24, s47
	v_mov_b32_e32 v25, s43
	v_mov_b32_e32 v27, s45
	v_mov_b32_e32 v28, s47
	v_mov_b32_e32 v29, s43
	v_mov_b32_e32 v33, s45
	v_mov_b32_e32 v34, s47
	v_mov_b32_e32 v35, s43
	v_mov_b32_e32 v37, s45
	v_mov_b32_e32 v38, s47
	v_mov_b32_e32 v39, s43
	v_mov_b32_e32 v41, s45
	v_mov_b32_e32 v43, s47
	v_mov_b32_e32 v44, s43
	v_mov_b32_e32 v45, s45
	v_mov_b32_e32 v46, s47
	v_mov_b32_e32 v47, s43
	v_mov_b32_e32 v48, s45
	v_mov_b32_e32 v49, s47
	s_waitcnt vmcnt(0)
	v_lshlrev_b32_e32 v0, 3, v0
	v_ashrrev_i32_e32 v1, 31, v0
	v_lshlrev_b64 v[0:1], 2, v[0:1]
	v_add_co_u32_e32 v10, vcc, s40, v0
	v_addc_co_u32_e32 v11, vcc, v2, v1, vcc
	global_load_dwordx4 v[6:9], v[10:11], off
	global_load_dwordx4 v[0:3], v[10:11], off offset:16
	v_mov_b32_e32 v10, s51
	v_add_co_u32_e32 v4, vcc, s50, v4
	v_addc_co_u32_e32 v5, vcc, v10, v5, vcc
	global_load_dword v50, v[4:5], off
	s_waitcnt vmcnt(2)
	v_ashrrev_i32_e32 v5, 31, v6
	v_mov_b32_e32 v4, v6
	v_ashrrev_i32_e32 v11, 31, v7
	v_mov_b32_e32 v10, v7
	;; [unrolled: 2-line block ×4, first 2 shown]
	s_waitcnt vmcnt(1)
	v_ashrrev_i32_e32 v9, 31, v0
	v_mov_b32_e32 v8, v0
	v_ashrrev_i32_e32 v15, 31, v1
	v_mov_b32_e32 v14, v1
	;; [unrolled: 2-line block ×4, first 2 shown]
	v_lshlrev_b64 v[2:3], 3, v[4:5]
	v_lshlrev_b64 v[4:5], 3, v[10:11]
	;; [unrolled: 1-line block ×5, first 2 shown]
	v_add_co_u32_e32 v16, vcc, s42, v2
	v_addc_co_u32_e32 v17, vcc, v18, v3, vcc
	v_add_co_u32_e32 v18, vcc, s44, v2
	v_addc_co_u32_e32 v19, vcc, v19, v3, vcc
	v_add_co_u32_e32 v2, vcc, s46, v2
	v_addc_co_u32_e32 v3, vcc, v20, v3, vcc
	v_add_co_u32_e32 v20, vcc, s42, v4
	v_addc_co_u32_e32 v21, vcc, v21, v5, vcc
	v_add_co_u32_e32 v22, vcc, s44, v4
	v_addc_co_u32_e32 v23, vcc, v23, v5, vcc
	v_add_co_u32_e32 v4, vcc, s46, v4
	v_lshlrev_b64 v[6:7], 3, v[6:7]
	v_addc_co_u32_e32 v5, vcc, v24, v5, vcc
	v_add_co_u32_e32 v24, vcc, s42, v6
	v_addc_co_u32_e32 v25, vcc, v25, v7, vcc
	v_add_co_u32_e32 v26, vcc, s44, v6
	v_addc_co_u32_e32 v27, vcc, v27, v7, vcc
	v_add_co_u32_e32 v6, vcc, s46, v6
	v_addc_co_u32_e32 v7, vcc, v28, v7, vcc
	v_add_co_u32_e32 v28, vcc, s42, v10
	v_addc_co_u32_e32 v29, vcc, v29, v11, vcc
	v_add_co_u32_e32 v32, vcc, s44, v10
	v_addc_co_u32_e32 v33, vcc, v33, v11, vcc
	v_add_co_u32_e32 v10, vcc, s46, v10
	v_lshlrev_b64 v[8:9], 3, v[8:9]
	v_addc_co_u32_e32 v11, vcc, v34, v11, vcc
	v_add_co_u32_e32 v34, vcc, s42, v8
	v_addc_co_u32_e32 v35, vcc, v35, v9, vcc
	v_add_co_u32_e32 v36, vcc, s44, v8
	v_addc_co_u32_e32 v37, vcc, v37, v9, vcc
	v_add_co_u32_e32 v8, vcc, s46, v8
	v_addc_co_u32_e32 v9, vcc, v38, v9, vcc
	v_add_co_u32_e32 v38, vcc, s42, v12
	v_addc_co_u32_e32 v39, vcc, v39, v13, vcc
	v_add_co_u32_e32 v40, vcc, s44, v12
	v_addc_co_u32_e32 v41, vcc, v41, v13, vcc
	v_add_co_u32_e32 v42, vcc, s46, v12
	v_lshlrev_b64 v[0:1], 3, v[0:1]
	v_addc_co_u32_e32 v43, vcc, v43, v13, vcc
	global_load_dwordx2 v[80:81], v[16:17], off
	global_load_dwordx2 v[76:77], v[18:19], off
	global_load_dwordx2 v[74:75], v[2:3], off
	v_add_co_u32_e32 v2, vcc, s42, v0
	v_addc_co_u32_e32 v3, vcc, v44, v1, vcc
	global_load_dwordx2 v[86:87], v[20:21], off
	global_load_dwordx2 v[82:83], v[22:23], off
	global_load_dwordx2 v[78:79], v[4:5], off
	global_load_dwordx2 v[88:89], v[24:25], off
	v_add_co_u32_e32 v4, vcc, s44, v0
	v_addc_co_u32_e32 v5, vcc, v45, v1, vcc
	v_add_co_u32_e32 v0, vcc, s46, v0
	v_addc_co_u32_e32 v1, vcc, v46, v1, vcc
	global_load_dwordx2 v[90:91], v[26:27], off
	global_load_dwordx2 v[84:85], v[6:7], off
	;; [unrolled: 1-line block ×4, first 2 shown]
	v_add_co_u32_e32 v6, vcc, s42, v14
	v_addc_co_u32_e32 v7, vcc, v47, v15, vcc
	global_load_dwordx2 v[94:95], v[10:11], off
	global_load_dwordx2 v[20:21], v[34:35], off
	;; [unrolled: 1-line block ×8, first 2 shown]
	v_add_co_u32_e32 v2, vcc, s44, v14
	v_addc_co_u32_e32 v3, vcc, v48, v15, vcc
	global_load_dwordx2 v[36:37], v[4:5], off
	global_load_dwordx2 v[26:27], v[0:1], off
	;; [unrolled: 1-line block ×4, first 2 shown]
	v_add_co_u32_e32 v0, vcc, s46, v14
	v_addc_co_u32_e32 v1, vcc, v49, v15, vcc
	global_load_dwordx2 v[40:41], v[0:1], off
	s_load_dwordx2 s[8:9], s[48:49], 0x4
	s_load_dwordx4 s[4:7], s[48:49], 0x10
	s_waitcnt vmcnt(24)
	v_sub_u32_e32 v2, 0, v50
	v_max_i32_e32 v2, v50, v2
	s_load_dwordx2 s[10:11], s[48:49], 0x20
	s_waitcnt lgkmcnt(0)
	s_mul_i32 s12, s9, s8
	s_abs_i32 s13, s12
	v_cvt_f32_u32_e32 v0, s13
	s_sub_i32 s14, 0, s13
	s_abs_i32 s8, s8
	v_mov_b32_e32 v10, s7
	v_rcp_iflag_f32_e32 v0, v0
	s_waitcnt vmcnt(23)
	buffer_store_dword v81, off, s[0:3], 0 offset:244
	buffer_store_dword v80, off, s[0:3], 0 offset:240
	s_waitcnt vmcnt(24)
	buffer_store_dword v77, off, s[0:3], 0 offset:308
	buffer_store_dword v76, off, s[0:3], 0 offset:304
	;; [unrolled: 3-line block ×24, first 2 shown]
	v_mul_f32_e32 v0, 0x4f7ffffe, v0
	v_cvt_u32_f32_e32 v0, v0
	v_mov_b32_e32 v44, 0x174d6123
	v_mov_b32_e32 v45, 0x2f52f8ac
	v_mul_lo_u32 v1, s14, v0
	v_mul_hi_u32 v1, v0, v1
	v_add_u32_e32 v0, v0, v1
	v_mul_hi_u32 v0, v2, v0
	v_mul_lo_u32 v3, v0, s13
	v_sub_u32_e32 v3, v2, v3
	v_xor_b32_e32 v1, s12, v50
	v_add_u32_e32 v4, 1, v0
	v_cmp_le_u32_e32 vcc, s13, v3
	s_abs_i32 s12, s9
	v_cndmask_b32_e32 v0, v0, v4, vcc
	v_cvt_f32_u32_e32 v4, s12
	v_subrev_u32_e32 v5, s13, v3
	v_cndmask_b32_e32 v3, v3, v5, vcc
	v_add_u32_e32 v5, 1, v0
	v_rcp_iflag_f32_e32 v6, v4
	v_cmp_le_u32_e32 vcc, s13, v3
	v_ashrrev_i32_e32 v1, 31, v1
	v_cndmask_b32_e32 v0, v0, v5, vcc
	v_xor_b32_e32 v0, v0, v1
	v_sub_u32_e32 v4, v0, v1
	v_mul_f32_e32 v0, 0x4f7ffffe, v6
	v_cvt_u32_f32_e32 v0, v0
	s_sub_i32 s13, 0, s12
	v_xor_b32_e32 v1, s9, v50
	v_ashrrev_i32_e32 v1, 31, v1
	v_mul_lo_u32 v3, s13, v0
	v_mul_hi_u32 v3, v0, v3
	v_add_u32_e32 v0, v0, v3
	v_mul_hi_u32 v0, v2, v0
	v_mul_lo_u32 v3, v0, s12
	v_sub_u32_e32 v2, v2, v3
	v_add_u32_e32 v3, 1, v0
	v_cmp_le_u32_e32 vcc, s12, v2
	v_cndmask_b32_e32 v0, v0, v3, vcc
	v_subrev_u32_e32 v3, s12, v2
	v_cndmask_b32_e32 v2, v2, v3, vcc
	v_cvt_f32_u32_e32 v3, s8
	v_cmp_le_u32_e32 vcc, s12, v2
	v_add_u32_e32 v5, 1, v0
	v_cndmask_b32_e32 v0, v0, v5, vcc
	v_rcp_iflag_f32_e32 v2, v3
	v_xor_b32_e32 v0, v0, v1
	s_sub_i32 s12, 0, s8
	v_sub_u32_e32 v0, v0, v1
	v_mul_f32_e32 v2, 0x4f7ffffe, v2
	v_cvt_u32_f32_e32 v2, v2
	v_sub_u32_e32 v3, 0, v0
	v_max_i32_e32 v3, v0, v3
	v_ashrrev_i32_e32 v1, 31, v0
	v_mul_lo_u32 v5, s12, v2
	v_mul_hi_u32 v5, v2, v5
	v_add_u32_e32 v2, v2, v5
	v_mul_hi_u32 v2, v3, v2
	v_mul_lo_u32 v2, v2, s8
	v_sub_u32_e32 v2, v3, v2
	v_subrev_u32_e32 v3, s8, v2
	v_cmp_le_u32_e32 vcc, s8, v2
	v_cndmask_b32_e32 v2, v2, v3, vcc
	v_subrev_u32_e32 v3, s8, v2
	v_cmp_le_u32_e32 vcc, s8, v2
	v_cndmask_b32_e32 v2, v2, v3, vcc
	v_mul_lo_u32 v0, v0, s9
	v_xor_b32_e32 v2, v2, v1
	v_sub_u32_e32 v0, v50, v0
	v_sub_u32_e32 v6, v2, v1
	v_ashrrev_i32_e32 v1, 31, v0
	v_lshlrev_b64 v[0:1], 3, v[0:1]
	v_mov_b32_e32 v2, s11
	v_add_co_u32_e32 v0, vcc, s10, v0
	v_ashrrev_i32_e32 v5, 31, v4
	v_addc_co_u32_e32 v1, vcc, v2, v1, vcc
	v_ashrrev_i32_e32 v7, 31, v6
	v_lshlrev_b64 v[4:5], 3, v[4:5]
	v_lshlrev_b64 v[8:9], 3, v[6:7]
	v_mov_b32_e32 v6, s5
	v_add_co_u32_e32 v4, vcc, s4, v4
	v_addc_co_u32_e32 v5, vcc, v6, v5, vcc
	v_add_co_u32_e32 v8, vcc, s6, v8
	v_addc_co_u32_e32 v9, vcc, v10, v9, vcc
	flat_load_dwordx4 v[0:3], v[0:1]
	v_mov_b32_e32 v50, 0
	flat_load_dwordx4 v[8:11], v[8:9]
	s_waitcnt vmcnt(0) lgkmcnt(0)
	v_add_f64 v[14:15], v[2:3], -v[0:1]
	flat_load_dwordx4 v[4:7], v[4:5]
	v_add_f64 v[10:11], v[10:11], -v[8:9]
	v_mul_f64 v[2:3], v[14:15], v[10:11]
	v_fmac_f64_e32 v[44:45], v[2:3], v[2:3]
	v_div_scale_f64 v[46:47], s[4:5], v[44:45], v[44:45], v[2:3]
	v_rcp_f64_e32 v[48:49], v[46:47]
	s_mov_b32 s4, 0
	s_mov_b32 s5, 0x3fd00000
	buffer_store_dword v50, off, s[0:3], 0 offset:8
	buffer_store_dword v50, off, s[0:3], 0 offset:4
	buffer_store_dword v50, off, s[0:3], 0
	s_waitcnt vmcnt(0) lgkmcnt(0)
	v_add_f64 v[32:33], v[6:7], -v[4:5]
	v_cmp_gt_f64_e32 vcc, v[6:7], v[4:5]
	v_fma_f64 v[6:7], -v[46:47], v[48:49], 1.0
	v_fmac_f64_e32 v[48:49], v[48:49], v[6:7]
	v_fma_f64 v[6:7], -v[46:47], v[48:49], 1.0
	v_cndmask_b32_e32 v35, 0, v33, vcc
	v_cndmask_b32_e32 v34, 0, v32, vcc
	v_fmac_f64_e32 v[48:49], v[48:49], v[6:7]
	v_div_scale_f64 v[6:7], vcc, v[2:3], v[44:45], v[2:3]
	v_mul_f64 v[32:33], v[6:7], v[48:49]
	v_fma_f64 v[6:7], -v[46:47], v[32:33], v[6:7]
	v_add_f64 v[56:57], v[74:75], -v[4:5]
	s_nop 0
	v_div_fmas_f64 v[6:7], v[6:7], v[48:49], v[32:33]
	v_div_fixup_f64 v[6:7], v[6:7], v[44:45], v[2:3]
	v_add_f64 v[44:45], v[80:81], v[88:89]
	v_add_f64 v[44:45], v[44:45], v[28:29]
	;; [unrolled: 1-line block ×3, first 2 shown]
	v_mul_f64 v[32:33], v[10:11], v[6:7]
	v_fma_f64 v[44:45], v[44:45], s[4:5], -v[0:1]
	v_mul_f64 v[72:73], v[44:45], v[32:33]
	v_add_f64 v[44:45], v[76:77], v[90:91]
	v_add_f64 v[44:45], v[44:45], v[36:37]
	v_add_f64 v[44:45], v[16:17], v[44:45]
	v_mul_f64 v[6:7], v[14:15], v[6:7]
	v_fma_f64 v[44:45], v[44:45], s[4:5], -v[8:9]
	v_mul_f64 v[70:71], v[44:45], v[6:7]
	v_add_f64 v[44:45], v[74:75], v[84:85]
	v_add_f64 v[44:45], v[44:45], v[26:27]
	;; [unrolled: 1-line block ×3, first 2 shown]
	v_fma_f64 v[62:63], v[44:45], s[4:5], -v[4:5]
	v_add_f64 v[44:45], v[80:81], -v[0:1]
	v_mul_f64 v[66:67], v[44:45], v[32:33]
	v_add_f64 v[44:45], v[88:89], -v[0:1]
	v_mul_f64 v[68:69], v[44:45], v[32:33]
	v_cmp_gt_f64_e64 s[6:7], 0, v[66:67]
	v_cmp_gt_f64_e64 s[10:11], 0, v[72:73]
	v_add_f64 v[44:45], v[76:77], -v[8:9]
	s_and_b64 s[4:5], s[6:7], s[10:11]
	v_cmp_gt_f64_e64 s[8:9], 0, v[68:69]
	v_mul_f64 v[60:61], v[44:45], v[6:7]
	v_add_f64 v[44:45], v[90:91], -v[8:9]
	s_and_b64 s[4:5], s[4:5], s[8:9]
	v_mul_f64 v[64:65], v[44:45], v[6:7]
	v_add_f64 v[58:59], v[84:85], -v[4:5]
	s_xor_b64 s[4:5], s[4:5], -1
	s_and_saveexec_b64 s[12:13], s[4:5]
	s_cbranch_execz .LBB2_12
; %bb.3:
	v_cmp_nle_f64_e32 vcc, 1.0, v[66:67]
	v_cmp_nle_f64_e64 s[4:5], 1.0, v[72:73]
	s_or_b64 s[4:5], vcc, s[4:5]
	v_cmp_nle_f64_e32 vcc, 1.0, v[68:69]
	s_or_b64 s[4:5], s[4:5], vcc
	s_and_b64 exec, exec, s[4:5]
	s_cbranch_execz .LBB2_12
; %bb.4:
	v_cmp_ngt_f64_e32 vcc, 0, v[60:61]
	v_cmp_ngt_f64_e64 s[4:5], 0, v[70:71]
	s_or_b64 s[4:5], vcc, s[4:5]
	v_cmp_ngt_f64_e32 vcc, 0, v[64:65]
	s_or_b64 s[4:5], s[4:5], vcc
	s_and_b64 exec, exec, s[4:5]
	s_cbranch_execz .LBB2_12
; %bb.5:
	v_cmp_nle_f64_e32 vcc, 1.0, v[60:61]
	v_cmp_nle_f64_e64 s[4:5], 1.0, v[70:71]
	s_or_b64 s[4:5], vcc, s[4:5]
	v_cmp_nle_f64_e32 vcc, 1.0, v[64:65]
	s_or_b64 s[4:5], s[4:5], vcc
	s_and_b64 exec, exec, s[4:5]
	s_cbranch_execz .LBB2_12
; %bb.6:
	v_cmp_ngt_f64_e32 vcc, 0, v[56:57]
	v_cmp_ngt_f64_e64 s[4:5], 0, v[62:63]
	s_or_b64 s[4:5], vcc, s[4:5]
	v_cmp_ngt_f64_e32 vcc, 0, v[58:59]
	s_or_b64 s[4:5], s[4:5], vcc
	s_and_b64 exec, exec, s[4:5]
	s_cbranch_execz .LBB2_12
; %bb.7:
	v_cmp_le_f64_e32 vcc, 0, v[66:67]
	v_cmp_le_f64_e64 s[4:5], 0, v[72:73]
	s_and_b64 s[4:5], vcc, s[4:5]
	v_cmp_le_f64_e32 vcc, 0, v[68:69]
	s_and_b64 s[4:5], s[4:5], vcc
	v_cmp_gt_f64_e32 vcc, 1.0, v[66:67]
	s_and_b64 s[4:5], vcc, s[4:5]
	v_cmp_gt_f64_e32 vcc, 1.0, v[72:73]
	s_and_b64 s[4:5], s[4:5], vcc
	v_cmp_gt_f64_e32 vcc, 1.0, v[68:69]
	s_and_b64 s[4:5], s[4:5], vcc
	v_cmp_le_f64_e32 vcc, 0, v[60:61]
	s_and_b64 s[4:5], vcc, s[4:5]
	v_cmp_le_f64_e32 vcc, 0, v[70:71]
	s_and_b64 s[4:5], s[4:5], vcc
	v_cmp_le_f64_e32 vcc, 0, v[64:65]
	s_and_b64 s[4:5], s[4:5], vcc
	v_cmp_gt_f64_e32 vcc, 1.0, v[60:61]
	s_and_b64 s[4:5], vcc, s[4:5]
	v_cmp_gt_f64_e32 vcc, 1.0, v[70:71]
	s_and_b64 s[4:5], s[4:5], vcc
	v_cmp_gt_f64_e32 vcc, 1.0, v[64:65]
	s_and_b64 s[4:5], s[4:5], vcc
	v_mov_b32_e32 v44, 8
	s_and_saveexec_b64 s[14:15], s[4:5]
	s_cbranch_execz .LBB2_11
; %bb.8:
	v_cmp_nge_f64_e32 vcc, v[56:57], v[34:35]
	v_cmp_nge_f64_e64 s[4:5], v[62:63], v[34:35]
	s_or_b64 s[4:5], vcc, s[4:5]
	v_cmp_nge_f64_e32 vcc, v[58:59], v[34:35]
	s_or_b64 s[4:5], s[4:5], vcc
	v_mov_b32_e32 v44, 4
	s_and_saveexec_b64 s[16:17], s[4:5]
	s_cbranch_execz .LBB2_10
; %bb.9:
	v_cmp_le_f64_e32 vcc, 0, v[56:57]
	v_cmp_le_f64_e64 s[4:5], 0, v[62:63]
	s_and_b64 s[4:5], vcc, s[4:5]
	v_cmp_le_f64_e32 vcc, 0, v[58:59]
	s_and_b64 s[4:5], s[4:5], vcc
	v_cmp_lt_f64_e32 vcc, v[56:57], v[34:35]
	s_and_b64 s[4:5], vcc, s[4:5]
	v_cmp_lt_f64_e32 vcc, v[62:63], v[34:35]
	s_and_b64 s[4:5], s[4:5], vcc
	v_cmp_lt_f64_e32 vcc, v[58:59], v[34:35]
	v_mov_b32_e32 v44, 0
	v_mov_b32_e32 v45, 8
	s_and_b64 vcc, s[4:5], vcc
	v_cndmask_b32_e32 v44, v45, v44, vcc
.LBB2_10:
	s_or_b64 exec, exec, s[16:17]
.LBB2_11:
	s_or_b64 exec, exec, s[14:15]
	buffer_load_dword v45, v44, s[0:3], 0 offen
	s_waitcnt vmcnt(0)
	v_or_b32_e32 v45, 1, v45
	buffer_store_dword v45, v44, s[0:3], 0 offen
.LBB2_12:
	s_or_b64 exec, exec, s[12:13]
	v_add_f64 v[44:45], v[28:29], -v[0:1]
	v_mul_f64 v[54:55], v[44:45], v[32:33]
	s_and_b64 s[12:13], s[8:9], s[10:11]
	v_cmp_gt_f64_e64 s[4:5], 0, v[54:55]
	v_add_f64 v[44:45], v[36:37], -v[8:9]
	s_and_b64 s[12:13], s[12:13], s[4:5]
	v_mul_f64 v[52:53], v[44:45], v[6:7]
	v_add_f64 v[50:51], v[26:27], -v[4:5]
	s_xor_b64 s[12:13], s[12:13], -1
	s_and_saveexec_b64 s[14:15], s[12:13]
	s_cbranch_execz .LBB2_22
; %bb.13:
	v_cmp_nle_f64_e32 vcc, 1.0, v[68:69]
	v_cmp_nle_f64_e64 s[12:13], 1.0, v[72:73]
	s_or_b64 s[12:13], vcc, s[12:13]
	v_cmp_nle_f64_e32 vcc, 1.0, v[54:55]
	s_or_b64 s[12:13], s[12:13], vcc
	s_and_b64 exec, exec, s[12:13]
	s_cbranch_execz .LBB2_22
; %bb.14:
	v_cmp_ngt_f64_e32 vcc, 0, v[64:65]
	v_cmp_ngt_f64_e64 s[12:13], 0, v[70:71]
	s_or_b64 s[12:13], vcc, s[12:13]
	v_cmp_ngt_f64_e32 vcc, 0, v[52:53]
	s_or_b64 s[12:13], s[12:13], vcc
	s_and_b64 exec, exec, s[12:13]
	s_cbranch_execz .LBB2_22
; %bb.15:
	v_cmp_nle_f64_e32 vcc, 1.0, v[64:65]
	v_cmp_nle_f64_e64 s[12:13], 1.0, v[70:71]
	s_or_b64 s[12:13], vcc, s[12:13]
	v_cmp_nle_f64_e32 vcc, 1.0, v[52:53]
	s_or_b64 s[12:13], s[12:13], vcc
	s_and_b64 exec, exec, s[12:13]
	s_cbranch_execz .LBB2_22
; %bb.16:
	v_cmp_ngt_f64_e32 vcc, 0, v[58:59]
	v_cmp_ngt_f64_e64 s[12:13], 0, v[62:63]
	s_or_b64 s[12:13], vcc, s[12:13]
	v_cmp_ngt_f64_e32 vcc, 0, v[50:51]
	s_or_b64 s[12:13], s[12:13], vcc
	s_and_b64 exec, exec, s[12:13]
	s_cbranch_execz .LBB2_22
; %bb.17:
	v_cmp_le_f64_e32 vcc, 0, v[68:69]
	v_cmp_le_f64_e64 s[12:13], 0, v[72:73]
	s_and_b64 s[12:13], vcc, s[12:13]
	v_cmp_le_f64_e32 vcc, 0, v[54:55]
	s_and_b64 s[12:13], s[12:13], vcc
	v_cmp_gt_f64_e32 vcc, 1.0, v[68:69]
	s_and_b64 s[12:13], vcc, s[12:13]
	v_cmp_gt_f64_e32 vcc, 1.0, v[72:73]
	s_and_b64 s[12:13], s[12:13], vcc
	v_cmp_gt_f64_e32 vcc, 1.0, v[54:55]
	s_and_b64 s[12:13], s[12:13], vcc
	v_cmp_le_f64_e32 vcc, 0, v[64:65]
	s_and_b64 s[12:13], vcc, s[12:13]
	v_cmp_le_f64_e32 vcc, 0, v[70:71]
	s_and_b64 s[12:13], s[12:13], vcc
	v_cmp_le_f64_e32 vcc, 0, v[52:53]
	s_and_b64 s[12:13], s[12:13], vcc
	v_cmp_gt_f64_e32 vcc, 1.0, v[64:65]
	s_and_b64 s[12:13], vcc, s[12:13]
	v_cmp_gt_f64_e32 vcc, 1.0, v[70:71]
	s_and_b64 s[12:13], s[12:13], vcc
	v_cmp_gt_f64_e32 vcc, 1.0, v[52:53]
	s_and_b64 s[12:13], s[12:13], vcc
	v_mov_b32_e32 v44, 8
	s_and_saveexec_b64 s[16:17], s[12:13]
	s_cbranch_execz .LBB2_21
; %bb.18:
	v_cmp_nge_f64_e32 vcc, v[58:59], v[34:35]
	v_cmp_nge_f64_e64 s[12:13], v[62:63], v[34:35]
	s_or_b64 s[12:13], vcc, s[12:13]
	v_cmp_nge_f64_e32 vcc, v[50:51], v[34:35]
	s_or_b64 s[12:13], s[12:13], vcc
	v_mov_b32_e32 v44, 4
	s_and_saveexec_b64 s[18:19], s[12:13]
	s_cbranch_execz .LBB2_20
; %bb.19:
	v_cmp_le_f64_e32 vcc, 0, v[58:59]
	v_cmp_le_f64_e64 s[12:13], 0, v[62:63]
	s_and_b64 s[12:13], vcc, s[12:13]
	v_cmp_le_f64_e32 vcc, 0, v[50:51]
	s_and_b64 s[12:13], s[12:13], vcc
	v_cmp_lt_f64_e32 vcc, v[58:59], v[34:35]
	s_and_b64 s[12:13], vcc, s[12:13]
	v_cmp_lt_f64_e32 vcc, v[62:63], v[34:35]
	s_and_b64 s[12:13], s[12:13], vcc
	v_cmp_lt_f64_e32 vcc, v[50:51], v[34:35]
	v_mov_b32_e32 v44, 0
	v_mov_b32_e32 v45, 8
	s_and_b64 vcc, s[12:13], vcc
	v_cndmask_b32_e32 v44, v45, v44, vcc
.LBB2_20:
	s_or_b64 exec, exec, s[18:19]
.LBB2_21:
	s_or_b64 exec, exec, s[16:17]
	buffer_load_dword v45, v44, s[0:3], 0 offen
	s_waitcnt vmcnt(0)
	v_or_b32_e32 v45, 2, v45
	buffer_store_dword v45, v44, s[0:3], 0 offen
.LBB2_22:
	s_or_b64 exec, exec, s[14:15]
	v_add_f64 v[44:45], v[20:21], -v[0:1]
	v_mul_f64 v[48:49], v[44:45], v[32:33]
	s_and_b64 s[12:13], s[4:5], s[10:11]
	v_cmp_gt_f64_e32 vcc, 0, v[48:49]
	v_add_f64 v[44:45], v[16:17], -v[8:9]
	s_and_b64 s[12:13], s[12:13], vcc
	v_mul_f64 v[46:47], v[44:45], v[6:7]
	v_add_f64 v[44:45], v[12:13], -v[4:5]
	s_xor_b64 s[12:13], s[12:13], -1
	s_and_saveexec_b64 s[16:17], s[12:13]
	s_cbranch_execz .LBB2_32
; %bb.23:
	v_cmp_nle_f64_e64 s[12:13], 1.0, v[54:55]
	v_cmp_nle_f64_e64 s[14:15], 1.0, v[72:73]
	s_or_b64 s[14:15], s[12:13], s[14:15]
	v_cmp_nle_f64_e64 s[12:13], 1.0, v[48:49]
	s_or_b64 s[12:13], s[14:15], s[12:13]
	s_and_b64 exec, exec, s[12:13]
	s_cbranch_execz .LBB2_32
; %bb.24:
	v_cmp_ngt_f64_e64 s[12:13], 0, v[52:53]
	v_cmp_ngt_f64_e64 s[14:15], 0, v[70:71]
	s_or_b64 s[14:15], s[12:13], s[14:15]
	v_cmp_ngt_f64_e64 s[12:13], 0, v[46:47]
	s_or_b64 s[12:13], s[14:15], s[12:13]
	s_and_b64 exec, exec, s[12:13]
	s_cbranch_execz .LBB2_32
; %bb.25:
	v_cmp_nle_f64_e64 s[12:13], 1.0, v[52:53]
	v_cmp_nle_f64_e64 s[14:15], 1.0, v[70:71]
	s_or_b64 s[14:15], s[12:13], s[14:15]
	v_cmp_nle_f64_e64 s[12:13], 1.0, v[46:47]
	s_or_b64 s[12:13], s[14:15], s[12:13]
	s_and_b64 exec, exec, s[12:13]
	s_cbranch_execz .LBB2_32
; %bb.26:
	v_cmp_ngt_f64_e64 s[12:13], 0, v[50:51]
	v_cmp_ngt_f64_e64 s[14:15], 0, v[62:63]
	s_or_b64 s[14:15], s[12:13], s[14:15]
	v_cmp_ngt_f64_e64 s[12:13], 0, v[44:45]
	s_or_b64 s[12:13], s[14:15], s[12:13]
	s_and_b64 exec, exec, s[12:13]
	s_cbranch_execz .LBB2_32
; %bb.27:
	v_cmp_le_f64_e64 s[12:13], 0, v[54:55]
	v_cmp_le_f64_e64 s[14:15], 0, v[72:73]
	s_and_b64 s[14:15], s[12:13], s[14:15]
	v_cmp_le_f64_e64 s[12:13], 0, v[48:49]
	s_and_b64 s[14:15], s[14:15], s[12:13]
	v_cmp_gt_f64_e64 s[12:13], 1.0, v[54:55]
	s_and_b64 s[14:15], s[12:13], s[14:15]
	v_cmp_gt_f64_e64 s[12:13], 1.0, v[72:73]
	;; [unrolled: 2-line block ×3, first 2 shown]
	s_and_b64 s[14:15], s[14:15], s[12:13]
	v_cmp_le_f64_e64 s[12:13], 0, v[52:53]
	s_and_b64 s[14:15], s[12:13], s[14:15]
	v_cmp_le_f64_e64 s[12:13], 0, v[70:71]
	;; [unrolled: 2-line block ×3, first 2 shown]
	s_and_b64 s[14:15], s[14:15], s[12:13]
	v_cmp_gt_f64_e64 s[12:13], 1.0, v[52:53]
	s_and_b64 s[14:15], s[12:13], s[14:15]
	v_cmp_gt_f64_e64 s[12:13], 1.0, v[70:71]
	;; [unrolled: 2-line block ×3, first 2 shown]
	s_and_b64 s[12:13], s[14:15], s[12:13]
	v_mov_b32_e32 v98, 8
	s_and_saveexec_b64 s[18:19], s[12:13]
	s_cbranch_execz .LBB2_31
; %bb.28:
	v_cmp_nge_f64_e64 s[12:13], v[50:51], v[34:35]
	v_cmp_nge_f64_e64 s[14:15], v[62:63], v[34:35]
	s_or_b64 s[14:15], s[12:13], s[14:15]
	v_cmp_nge_f64_e64 s[12:13], v[44:45], v[34:35]
	s_or_b64 s[12:13], s[14:15], s[12:13]
	v_mov_b32_e32 v98, 4
	s_and_saveexec_b64 s[20:21], s[12:13]
	s_cbranch_execz .LBB2_30
; %bb.29:
	v_cmp_le_f64_e64 s[12:13], 0, v[50:51]
	v_cmp_le_f64_e64 s[14:15], 0, v[62:63]
	s_and_b64 s[14:15], s[12:13], s[14:15]
	v_cmp_le_f64_e64 s[12:13], 0, v[44:45]
	s_and_b64 s[14:15], s[14:15], s[12:13]
	v_cmp_lt_f64_e64 s[12:13], v[50:51], v[34:35]
	s_and_b64 s[14:15], s[12:13], s[14:15]
	v_cmp_lt_f64_e64 s[12:13], v[62:63], v[34:35]
	;; [unrolled: 2-line block ×3, first 2 shown]
	v_mov_b32_e32 v98, 0
	v_mov_b32_e32 v99, 8
	s_and_b64 s[12:13], s[14:15], s[12:13]
	v_cndmask_b32_e64 v98, v99, v98, s[12:13]
.LBB2_30:
	s_or_b64 exec, exec, s[20:21]
.LBB2_31:
	s_or_b64 exec, exec, s[18:19]
	buffer_load_dword v99, v98, s[0:3], 0 offen
	s_waitcnt vmcnt(0)
	v_or_b32_e32 v99, 4, v99
	buffer_store_dword v99, v98, s[0:3], 0 offen
.LBB2_32:
	s_or_b64 exec, exec, s[16:17]
	s_and_b64 s[10:11], vcc, s[10:11]
	s_and_b64 s[10:11], s[6:7], s[10:11]
	s_xor_b64 s[10:11], s[10:11], -1
	s_and_saveexec_b64 s[14:15], s[10:11]
	s_cbranch_execz .LBB2_42
; %bb.33:
	v_cmp_nle_f64_e64 s[10:11], 1.0, v[48:49]
	v_cmp_nle_f64_e64 s[12:13], 1.0, v[72:73]
	s_or_b64 s[12:13], s[10:11], s[12:13]
	v_cmp_nle_f64_e64 s[10:11], 1.0, v[66:67]
	s_or_b64 s[10:11], s[10:11], s[12:13]
	s_and_b64 exec, exec, s[10:11]
	s_cbranch_execz .LBB2_42
; %bb.34:
	v_cmp_ngt_f64_e64 s[10:11], 0, v[46:47]
	v_cmp_ngt_f64_e64 s[12:13], 0, v[70:71]
	s_or_b64 s[12:13], s[10:11], s[12:13]
	v_cmp_ngt_f64_e64 s[10:11], 0, v[60:61]
	s_or_b64 s[10:11], s[12:13], s[10:11]
	s_and_b64 exec, exec, s[10:11]
	s_cbranch_execz .LBB2_42
; %bb.35:
	v_cmp_nle_f64_e64 s[10:11], 1.0, v[46:47]
	v_cmp_nle_f64_e64 s[12:13], 1.0, v[70:71]
	s_or_b64 s[12:13], s[10:11], s[12:13]
	v_cmp_nle_f64_e64 s[10:11], 1.0, v[60:61]
	s_or_b64 s[10:11], s[12:13], s[10:11]
	s_and_b64 exec, exec, s[10:11]
	s_cbranch_execz .LBB2_42
; %bb.36:
	v_cmp_ngt_f64_e64 s[10:11], 0, v[44:45]
	v_cmp_ngt_f64_e64 s[12:13], 0, v[62:63]
	s_or_b64 s[12:13], s[10:11], s[12:13]
	v_cmp_ngt_f64_e64 s[10:11], 0, v[56:57]
	s_or_b64 s[10:11], s[12:13], s[10:11]
	s_and_b64 exec, exec, s[10:11]
	s_cbranch_execz .LBB2_42
; %bb.37:
	v_cmp_le_f64_e64 s[10:11], 0, v[48:49]
	v_cmp_le_f64_e64 s[12:13], 0, v[72:73]
	s_and_b64 s[12:13], s[10:11], s[12:13]
	v_cmp_le_f64_e64 s[10:11], 0, v[66:67]
	s_and_b64 s[12:13], s[10:11], s[12:13]
	v_cmp_gt_f64_e64 s[10:11], 1.0, v[48:49]
	s_and_b64 s[12:13], s[10:11], s[12:13]
	v_cmp_gt_f64_e64 s[10:11], 1.0, v[72:73]
	s_and_b64 s[12:13], s[12:13], s[10:11]
	v_cmp_gt_f64_e64 s[10:11], 1.0, v[66:67]
	s_and_b64 s[12:13], s[10:11], s[12:13]
	v_cmp_le_f64_e64 s[10:11], 0, v[46:47]
	s_and_b64 s[12:13], s[10:11], s[12:13]
	v_cmp_le_f64_e64 s[10:11], 0, v[70:71]
	;; [unrolled: 2-line block ×3, first 2 shown]
	s_and_b64 s[12:13], s[12:13], s[10:11]
	v_cmp_gt_f64_e64 s[10:11], 1.0, v[46:47]
	s_and_b64 s[12:13], s[10:11], s[12:13]
	v_cmp_gt_f64_e64 s[10:11], 1.0, v[70:71]
	;; [unrolled: 2-line block ×3, first 2 shown]
	s_and_b64 s[10:11], s[12:13], s[10:11]
	v_mov_b32_e32 v70, 8
	s_and_saveexec_b64 s[16:17], s[10:11]
	s_cbranch_execz .LBB2_41
; %bb.38:
	v_cmp_nge_f64_e64 s[10:11], v[44:45], v[34:35]
	v_cmp_nge_f64_e64 s[12:13], v[62:63], v[34:35]
	s_or_b64 s[12:13], s[10:11], s[12:13]
	v_cmp_nge_f64_e64 s[10:11], v[56:57], v[34:35]
	s_or_b64 s[10:11], s[12:13], s[10:11]
	v_mov_b32_e32 v70, 4
	s_and_saveexec_b64 s[18:19], s[10:11]
	s_cbranch_execz .LBB2_40
; %bb.39:
	v_cmp_le_f64_e64 s[10:11], 0, v[44:45]
	v_cmp_le_f64_e64 s[12:13], 0, v[62:63]
	s_and_b64 s[12:13], s[10:11], s[12:13]
	v_cmp_le_f64_e64 s[10:11], 0, v[56:57]
	s_and_b64 s[12:13], s[12:13], s[10:11]
	v_cmp_lt_f64_e64 s[10:11], v[44:45], v[34:35]
	s_and_b64 s[12:13], s[10:11], s[12:13]
	v_cmp_lt_f64_e64 s[10:11], v[62:63], v[34:35]
	;; [unrolled: 2-line block ×3, first 2 shown]
	v_mov_b32_e32 v62, 0
	v_mov_b32_e32 v63, 8
	s_and_b64 s[10:11], s[12:13], s[10:11]
	v_cndmask_b32_e64 v70, v63, v62, s[10:11]
.LBB2_40:
	s_or_b64 exec, exec, s[18:19]
.LBB2_41:
	s_or_b64 exec, exec, s[16:17]
	buffer_load_dword v62, v70, s[0:3], 0 offen
	s_waitcnt vmcnt(0)
	v_or_b32_e32 v62, 8, v62
	buffer_store_dword v62, v70, s[0:3], 0 offen
.LBB2_42:
	s_or_b64 exec, exec, s[14:15]
	v_add_f64 v[62:63], v[86:87], v[24:25]
	v_add_f64 v[62:63], v[62:63], v[42:43]
	s_mov_b32 s10, 0
	v_add_f64 v[62:63], v[96:97], v[62:63]
	s_mov_b32 s11, 0x3fd00000
	v_fma_f64 v[62:63], v[62:63], s[10:11], -v[0:1]
	v_mul_f64 v[120:121], v[62:63], v[32:33]
	v_add_f64 v[62:63], v[82:83], v[22:23]
	v_add_f64 v[62:63], v[62:63], v[38:39]
	;; [unrolled: 1-line block ×3, first 2 shown]
	v_fma_f64 v[62:63], v[62:63], s[10:11], -v[8:9]
	v_mul_f64 v[118:119], v[62:63], v[6:7]
	v_add_f64 v[62:63], v[78:79], v[18:19]
	v_add_f64 v[62:63], v[62:63], v[40:41]
	v_add_f64 v[62:63], v[94:95], v[62:63]
	v_fma_f64 v[116:117], v[62:63], s[10:11], -v[4:5]
	v_add_f64 v[62:63], v[86:87], -v[0:1]
	v_mul_f64 v[108:109], v[62:63], v[32:33]
	v_add_f64 v[62:63], v[24:25], -v[0:1]
	v_mul_f64 v[72:73], v[62:63], v[32:33]
	v_cmp_gt_f64_e64 s[14:15], 0, v[108:109]
	v_cmp_gt_f64_e64 s[18:19], 0, v[120:121]
	v_add_f64 v[62:63], v[82:83], -v[8:9]
	s_and_b64 s[12:13], s[14:15], s[18:19]
	v_cmp_gt_f64_e64 s[10:11], 0, v[72:73]
	v_mul_f64 v[106:107], v[62:63], v[6:7]
	v_add_f64 v[62:63], v[22:23], -v[8:9]
	s_and_b64 s[12:13], s[12:13], s[10:11]
	v_mul_f64 v[70:71], v[62:63], v[6:7]
	v_add_f64 v[104:105], v[78:79], -v[4:5]
	v_add_f64 v[62:63], v[18:19], -v[4:5]
	s_xor_b64 s[12:13], s[12:13], -1
	s_and_saveexec_b64 s[20:21], s[12:13]
	s_cbranch_execz .LBB2_52
; %bb.43:
	v_cmp_nle_f64_e64 s[12:13], 1.0, v[108:109]
	v_cmp_nle_f64_e64 s[16:17], 1.0, v[120:121]
	s_or_b64 s[16:17], s[12:13], s[16:17]
	v_cmp_nle_f64_e64 s[12:13], 1.0, v[72:73]
	s_or_b64 s[12:13], s[16:17], s[12:13]
	s_and_b64 exec, exec, s[12:13]
	s_cbranch_execz .LBB2_52
; %bb.44:
	v_cmp_ngt_f64_e64 s[12:13], 0, v[106:107]
	v_cmp_ngt_f64_e64 s[16:17], 0, v[118:119]
	s_or_b64 s[16:17], s[12:13], s[16:17]
	v_cmp_ngt_f64_e64 s[12:13], 0, v[70:71]
	s_or_b64 s[12:13], s[16:17], s[12:13]
	s_and_b64 exec, exec, s[12:13]
	s_cbranch_execz .LBB2_52
; %bb.45:
	v_cmp_nle_f64_e64 s[12:13], 1.0, v[106:107]
	v_cmp_nle_f64_e64 s[16:17], 1.0, v[118:119]
	s_or_b64 s[16:17], s[12:13], s[16:17]
	v_cmp_nle_f64_e64 s[12:13], 1.0, v[70:71]
	s_or_b64 s[12:13], s[16:17], s[12:13]
	s_and_b64 exec, exec, s[12:13]
	s_cbranch_execz .LBB2_52
; %bb.46:
	v_cmp_ngt_f64_e64 s[12:13], 0, v[104:105]
	v_cmp_ngt_f64_e64 s[16:17], 0, v[116:117]
	s_or_b64 s[16:17], s[12:13], s[16:17]
	v_cmp_ngt_f64_e64 s[12:13], 0, v[62:63]
	s_or_b64 s[12:13], s[16:17], s[12:13]
	s_and_b64 exec, exec, s[12:13]
	s_cbranch_execz .LBB2_52
; %bb.47:
	v_cmp_le_f64_e64 s[12:13], 0, v[108:109]
	v_cmp_le_f64_e64 s[16:17], 0, v[120:121]
	s_and_b64 s[16:17], s[12:13], s[16:17]
	v_cmp_le_f64_e64 s[12:13], 0, v[72:73]
	s_and_b64 s[16:17], s[16:17], s[12:13]
	v_cmp_gt_f64_e64 s[12:13], 1.0, v[108:109]
	s_and_b64 s[16:17], s[12:13], s[16:17]
	v_cmp_gt_f64_e64 s[12:13], 1.0, v[120:121]
	;; [unrolled: 2-line block ×3, first 2 shown]
	s_and_b64 s[16:17], s[16:17], s[12:13]
	v_cmp_le_f64_e64 s[12:13], 0, v[106:107]
	s_and_b64 s[16:17], s[12:13], s[16:17]
	v_cmp_le_f64_e64 s[12:13], 0, v[118:119]
	;; [unrolled: 2-line block ×3, first 2 shown]
	s_and_b64 s[16:17], s[16:17], s[12:13]
	v_cmp_gt_f64_e64 s[12:13], 1.0, v[106:107]
	s_and_b64 s[16:17], s[12:13], s[16:17]
	v_cmp_gt_f64_e64 s[12:13], 1.0, v[118:119]
	;; [unrolled: 2-line block ×3, first 2 shown]
	s_and_b64 s[12:13], s[16:17], s[12:13]
	v_mov_b32_e32 v98, 8
	s_and_saveexec_b64 s[22:23], s[12:13]
	s_cbranch_execz .LBB2_51
; %bb.48:
	v_cmp_nge_f64_e64 s[12:13], v[104:105], v[34:35]
	v_cmp_nge_f64_e64 s[16:17], v[116:117], v[34:35]
	s_or_b64 s[16:17], s[12:13], s[16:17]
	v_cmp_nge_f64_e64 s[12:13], v[62:63], v[34:35]
	s_or_b64 s[12:13], s[16:17], s[12:13]
	v_mov_b32_e32 v98, 4
	s_and_saveexec_b64 s[24:25], s[12:13]
	s_cbranch_execz .LBB2_50
; %bb.49:
	v_cmp_le_f64_e64 s[12:13], 0, v[104:105]
	v_cmp_le_f64_e64 s[16:17], 0, v[116:117]
	s_and_b64 s[16:17], s[12:13], s[16:17]
	v_cmp_le_f64_e64 s[12:13], 0, v[62:63]
	s_and_b64 s[16:17], s[16:17], s[12:13]
	v_cmp_lt_f64_e64 s[12:13], v[104:105], v[34:35]
	s_and_b64 s[16:17], s[12:13], s[16:17]
	v_cmp_lt_f64_e64 s[12:13], v[116:117], v[34:35]
	;; [unrolled: 2-line block ×3, first 2 shown]
	v_mov_b32_e32 v98, 0
	v_mov_b32_e32 v99, 8
	s_and_b64 s[12:13], s[16:17], s[12:13]
	v_cndmask_b32_e64 v98, v99, v98, s[12:13]
.LBB2_50:
	s_or_b64 exec, exec, s[24:25]
.LBB2_51:
	s_or_b64 exec, exec, s[22:23]
	buffer_load_dword v99, v98, s[0:3], 0 offen
	s_waitcnt vmcnt(0)
	v_or_b32_e32 v99, 16, v99
	buffer_store_dword v99, v98, s[0:3], 0 offen
.LBB2_52:
	s_or_b64 exec, exec, s[20:21]
	v_add_f64 v[98:99], v[42:43], -v[0:1]
	v_mul_f64 v[102:103], v[98:99], v[32:33]
	s_and_b64 s[16:17], s[10:11], s[18:19]
	v_cmp_gt_f64_e64 s[12:13], 0, v[102:103]
	v_add_f64 v[98:99], v[38:39], -v[8:9]
	s_and_b64 s[16:17], s[16:17], s[12:13]
	v_mul_f64 v[100:101], v[98:99], v[6:7]
	v_add_f64 v[98:99], v[40:41], -v[4:5]
	s_xor_b64 s[16:17], s[16:17], -1
	s_and_saveexec_b64 s[22:23], s[16:17]
	s_cbranch_execz .LBB2_62
; %bb.53:
	v_cmp_nle_f64_e64 s[16:17], 1.0, v[72:73]
	v_cmp_nle_f64_e64 s[20:21], 1.0, v[120:121]
	s_or_b64 s[20:21], s[16:17], s[20:21]
	v_cmp_nle_f64_e64 s[16:17], 1.0, v[102:103]
	s_or_b64 s[16:17], s[20:21], s[16:17]
	s_and_b64 exec, exec, s[16:17]
	s_cbranch_execz .LBB2_62
; %bb.54:
	v_cmp_ngt_f64_e64 s[16:17], 0, v[70:71]
	v_cmp_ngt_f64_e64 s[20:21], 0, v[118:119]
	s_or_b64 s[20:21], s[16:17], s[20:21]
	v_cmp_ngt_f64_e64 s[16:17], 0, v[100:101]
	s_or_b64 s[16:17], s[20:21], s[16:17]
	s_and_b64 exec, exec, s[16:17]
	s_cbranch_execz .LBB2_62
; %bb.55:
	v_cmp_nle_f64_e64 s[16:17], 1.0, v[70:71]
	v_cmp_nle_f64_e64 s[20:21], 1.0, v[118:119]
	s_or_b64 s[20:21], s[16:17], s[20:21]
	v_cmp_nle_f64_e64 s[16:17], 1.0, v[100:101]
	s_or_b64 s[16:17], s[20:21], s[16:17]
	s_and_b64 exec, exec, s[16:17]
	s_cbranch_execz .LBB2_62
; %bb.56:
	v_cmp_ngt_f64_e64 s[16:17], 0, v[62:63]
	v_cmp_ngt_f64_e64 s[20:21], 0, v[116:117]
	s_or_b64 s[20:21], s[16:17], s[20:21]
	v_cmp_ngt_f64_e64 s[16:17], 0, v[98:99]
	s_or_b64 s[16:17], s[20:21], s[16:17]
	s_and_b64 exec, exec, s[16:17]
	s_cbranch_execz .LBB2_62
; %bb.57:
	v_cmp_le_f64_e64 s[16:17], 0, v[72:73]
	v_cmp_le_f64_e64 s[20:21], 0, v[120:121]
	s_and_b64 s[20:21], s[16:17], s[20:21]
	v_cmp_le_f64_e64 s[16:17], 0, v[102:103]
	s_and_b64 s[20:21], s[20:21], s[16:17]
	v_cmp_gt_f64_e64 s[16:17], 1.0, v[72:73]
	s_and_b64 s[20:21], s[16:17], s[20:21]
	v_cmp_gt_f64_e64 s[16:17], 1.0, v[120:121]
	s_and_b64 s[20:21], s[20:21], s[16:17]
	v_cmp_gt_f64_e64 s[16:17], 1.0, v[102:103]
	s_and_b64 s[20:21], s[20:21], s[16:17]
	v_cmp_le_f64_e64 s[16:17], 0, v[70:71]
	s_and_b64 s[20:21], s[16:17], s[20:21]
	v_cmp_le_f64_e64 s[16:17], 0, v[118:119]
	;; [unrolled: 2-line block ×3, first 2 shown]
	s_and_b64 s[20:21], s[20:21], s[16:17]
	v_cmp_gt_f64_e64 s[16:17], 1.0, v[70:71]
	s_and_b64 s[20:21], s[16:17], s[20:21]
	v_cmp_gt_f64_e64 s[16:17], 1.0, v[118:119]
	;; [unrolled: 2-line block ×3, first 2 shown]
	s_and_b64 s[16:17], s[20:21], s[16:17]
	v_mov_b32_e32 v110, 8
	s_and_saveexec_b64 s[24:25], s[16:17]
	s_cbranch_execz .LBB2_61
; %bb.58:
	v_cmp_nge_f64_e64 s[16:17], v[62:63], v[34:35]
	v_cmp_nge_f64_e64 s[20:21], v[116:117], v[34:35]
	s_or_b64 s[20:21], s[16:17], s[20:21]
	v_cmp_nge_f64_e64 s[16:17], v[98:99], v[34:35]
	s_or_b64 s[16:17], s[20:21], s[16:17]
	v_mov_b32_e32 v110, 4
	s_and_saveexec_b64 s[26:27], s[16:17]
	s_cbranch_execz .LBB2_60
; %bb.59:
	v_cmp_le_f64_e64 s[16:17], 0, v[62:63]
	v_cmp_le_f64_e64 s[20:21], 0, v[116:117]
	s_and_b64 s[20:21], s[16:17], s[20:21]
	v_cmp_le_f64_e64 s[16:17], 0, v[98:99]
	s_and_b64 s[20:21], s[20:21], s[16:17]
	v_cmp_lt_f64_e64 s[16:17], v[62:63], v[34:35]
	s_and_b64 s[20:21], s[16:17], s[20:21]
	v_cmp_lt_f64_e64 s[16:17], v[116:117], v[34:35]
	s_and_b64 s[20:21], s[20:21], s[16:17]
	v_cmp_lt_f64_e64 s[16:17], v[98:99], v[34:35]
	v_mov_b32_e32 v110, 0
	v_mov_b32_e32 v111, 8
	s_and_b64 s[16:17], s[20:21], s[16:17]
	v_cndmask_b32_e64 v110, v111, v110, s[16:17]
.LBB2_60:
	s_or_b64 exec, exec, s[26:27]
.LBB2_61:
	s_or_b64 exec, exec, s[24:25]
	buffer_load_dword v111, v110, s[0:3], 0 offen
	s_waitcnt vmcnt(0)
	v_or_b32_e32 v111, 32, v111
	buffer_store_dword v111, v110, s[0:3], 0 offen
.LBB2_62:
	s_or_b64 exec, exec, s[22:23]
	v_add_f64 v[110:111], v[96:97], -v[0:1]
	v_mul_f64 v[114:115], v[110:111], v[32:33]
	s_and_b64 s[20:21], s[12:13], s[18:19]
	v_cmp_gt_f64_e64 s[16:17], 0, v[114:115]
	v_add_f64 v[110:111], v[92:93], -v[8:9]
	s_and_b64 s[20:21], s[20:21], s[16:17]
	v_mul_f64 v[112:113], v[110:111], v[6:7]
	v_add_f64 v[110:111], v[94:95], -v[4:5]
	s_xor_b64 s[20:21], s[20:21], -1
	s_and_saveexec_b64 s[24:25], s[20:21]
	s_cbranch_execz .LBB2_72
; %bb.63:
	v_cmp_nle_f64_e64 s[20:21], 1.0, v[102:103]
	v_cmp_nle_f64_e64 s[22:23], 1.0, v[120:121]
	s_or_b64 s[22:23], s[20:21], s[22:23]
	v_cmp_nle_f64_e64 s[20:21], 1.0, v[114:115]
	s_or_b64 s[20:21], s[22:23], s[20:21]
	s_and_b64 exec, exec, s[20:21]
	s_cbranch_execz .LBB2_72
; %bb.64:
	v_cmp_ngt_f64_e64 s[20:21], 0, v[100:101]
	v_cmp_ngt_f64_e64 s[22:23], 0, v[118:119]
	s_or_b64 s[22:23], s[20:21], s[22:23]
	v_cmp_ngt_f64_e64 s[20:21], 0, v[112:113]
	s_or_b64 s[20:21], s[22:23], s[20:21]
	s_and_b64 exec, exec, s[20:21]
	s_cbranch_execz .LBB2_72
; %bb.65:
	v_cmp_nle_f64_e64 s[20:21], 1.0, v[100:101]
	v_cmp_nle_f64_e64 s[22:23], 1.0, v[118:119]
	s_or_b64 s[22:23], s[20:21], s[22:23]
	v_cmp_nle_f64_e64 s[20:21], 1.0, v[112:113]
	s_or_b64 s[20:21], s[22:23], s[20:21]
	s_and_b64 exec, exec, s[20:21]
	s_cbranch_execz .LBB2_72
; %bb.66:
	v_cmp_ngt_f64_e64 s[20:21], 0, v[98:99]
	v_cmp_ngt_f64_e64 s[22:23], 0, v[116:117]
	s_or_b64 s[22:23], s[20:21], s[22:23]
	v_cmp_ngt_f64_e64 s[20:21], 0, v[110:111]
	s_or_b64 s[20:21], s[22:23], s[20:21]
	s_and_b64 exec, exec, s[20:21]
	s_cbranch_execz .LBB2_72
; %bb.67:
	v_cmp_le_f64_e64 s[20:21], 0, v[102:103]
	v_cmp_le_f64_e64 s[22:23], 0, v[120:121]
	s_and_b64 s[22:23], s[20:21], s[22:23]
	v_cmp_le_f64_e64 s[20:21], 0, v[114:115]
	s_and_b64 s[22:23], s[22:23], s[20:21]
	v_cmp_gt_f64_e64 s[20:21], 1.0, v[102:103]
	s_and_b64 s[22:23], s[20:21], s[22:23]
	v_cmp_gt_f64_e64 s[20:21], 1.0, v[120:121]
	;; [unrolled: 2-line block ×3, first 2 shown]
	s_and_b64 s[22:23], s[22:23], s[20:21]
	v_cmp_le_f64_e64 s[20:21], 0, v[100:101]
	s_and_b64 s[22:23], s[20:21], s[22:23]
	v_cmp_le_f64_e64 s[20:21], 0, v[118:119]
	;; [unrolled: 2-line block ×3, first 2 shown]
	s_and_b64 s[22:23], s[22:23], s[20:21]
	v_cmp_gt_f64_e64 s[20:21], 1.0, v[100:101]
	s_and_b64 s[22:23], s[20:21], s[22:23]
	v_cmp_gt_f64_e64 s[20:21], 1.0, v[118:119]
	;; [unrolled: 2-line block ×3, first 2 shown]
	s_and_b64 s[20:21], s[22:23], s[20:21]
	v_mov_b32_e32 v122, 8
	s_and_saveexec_b64 s[26:27], s[20:21]
	s_cbranch_execz .LBB2_71
; %bb.68:
	v_cmp_nge_f64_e64 s[20:21], v[98:99], v[34:35]
	v_cmp_nge_f64_e64 s[22:23], v[116:117], v[34:35]
	s_or_b64 s[22:23], s[20:21], s[22:23]
	v_cmp_nge_f64_e64 s[20:21], v[110:111], v[34:35]
	s_or_b64 s[20:21], s[22:23], s[20:21]
	v_mov_b32_e32 v122, 4
	s_and_saveexec_b64 s[28:29], s[20:21]
	s_cbranch_execz .LBB2_70
; %bb.69:
	v_cmp_le_f64_e64 s[20:21], 0, v[98:99]
	v_cmp_le_f64_e64 s[22:23], 0, v[116:117]
	s_and_b64 s[22:23], s[20:21], s[22:23]
	v_cmp_le_f64_e64 s[20:21], 0, v[110:111]
	s_and_b64 s[22:23], s[22:23], s[20:21]
	v_cmp_lt_f64_e64 s[20:21], v[98:99], v[34:35]
	s_and_b64 s[22:23], s[20:21], s[22:23]
	v_cmp_lt_f64_e64 s[20:21], v[116:117], v[34:35]
	;; [unrolled: 2-line block ×3, first 2 shown]
	v_mov_b32_e32 v122, 0
	v_mov_b32_e32 v123, 8
	s_and_b64 s[20:21], s[22:23], s[20:21]
	v_cndmask_b32_e64 v122, v123, v122, s[20:21]
.LBB2_70:
	s_or_b64 exec, exec, s[28:29]
.LBB2_71:
	s_or_b64 exec, exec, s[26:27]
	buffer_load_dword v123, v122, s[0:3], 0 offen
	s_waitcnt vmcnt(0)
	v_or_b32_e32 v123, 64, v123
	buffer_store_dword v123, v122, s[0:3], 0 offen
.LBB2_72:
	s_or_b64 exec, exec, s[24:25]
	s_and_b64 s[18:19], s[16:17], s[18:19]
	s_and_b64 s[18:19], s[14:15], s[18:19]
	s_xor_b64 s[18:19], s[18:19], -1
	s_and_saveexec_b64 s[22:23], s[18:19]
	s_cbranch_execz .LBB2_82
; %bb.73:
	v_cmp_nle_f64_e64 s[18:19], 1.0, v[114:115]
	v_cmp_nle_f64_e64 s[20:21], 1.0, v[120:121]
	s_or_b64 s[20:21], s[18:19], s[20:21]
	v_cmp_nle_f64_e64 s[18:19], 1.0, v[108:109]
	s_or_b64 s[18:19], s[18:19], s[20:21]
	s_and_b64 exec, exec, s[18:19]
	s_cbranch_execz .LBB2_82
; %bb.74:
	v_cmp_ngt_f64_e64 s[18:19], 0, v[112:113]
	v_cmp_ngt_f64_e64 s[20:21], 0, v[118:119]
	s_or_b64 s[20:21], s[18:19], s[20:21]
	v_cmp_ngt_f64_e64 s[18:19], 0, v[106:107]
	s_or_b64 s[18:19], s[20:21], s[18:19]
	s_and_b64 exec, exec, s[18:19]
	s_cbranch_execz .LBB2_82
; %bb.75:
	v_cmp_nle_f64_e64 s[18:19], 1.0, v[112:113]
	v_cmp_nle_f64_e64 s[20:21], 1.0, v[118:119]
	s_or_b64 s[20:21], s[18:19], s[20:21]
	v_cmp_nle_f64_e64 s[18:19], 1.0, v[106:107]
	s_or_b64 s[18:19], s[20:21], s[18:19]
	s_and_b64 exec, exec, s[18:19]
	s_cbranch_execz .LBB2_82
; %bb.76:
	v_cmp_ngt_f64_e64 s[18:19], 0, v[110:111]
	v_cmp_ngt_f64_e64 s[20:21], 0, v[116:117]
	s_or_b64 s[20:21], s[18:19], s[20:21]
	v_cmp_ngt_f64_e64 s[18:19], 0, v[104:105]
	s_or_b64 s[18:19], s[20:21], s[18:19]
	s_and_b64 exec, exec, s[18:19]
	s_cbranch_execz .LBB2_82
; %bb.77:
	v_cmp_le_f64_e64 s[18:19], 0, v[114:115]
	v_cmp_le_f64_e64 s[20:21], 0, v[120:121]
	s_and_b64 s[20:21], s[18:19], s[20:21]
	v_cmp_le_f64_e64 s[18:19], 0, v[108:109]
	s_and_b64 s[20:21], s[18:19], s[20:21]
	v_cmp_gt_f64_e64 s[18:19], 1.0, v[114:115]
	s_and_b64 s[20:21], s[18:19], s[20:21]
	v_cmp_gt_f64_e64 s[18:19], 1.0, v[120:121]
	;; [unrolled: 2-line block ×3, first 2 shown]
	s_and_b64 s[20:21], s[18:19], s[20:21]
	v_cmp_le_f64_e64 s[18:19], 0, v[112:113]
	s_and_b64 s[20:21], s[18:19], s[20:21]
	v_cmp_le_f64_e64 s[18:19], 0, v[118:119]
	;; [unrolled: 2-line block ×3, first 2 shown]
	s_and_b64 s[20:21], s[20:21], s[18:19]
	v_cmp_gt_f64_e64 s[18:19], 1.0, v[112:113]
	s_and_b64 s[20:21], s[18:19], s[20:21]
	v_cmp_gt_f64_e64 s[18:19], 1.0, v[118:119]
	s_and_b64 s[20:21], s[20:21], s[18:19]
	v_cmp_gt_f64_e64 s[18:19], 1.0, v[106:107]
	s_and_b64 s[18:19], s[20:21], s[18:19]
	v_mov_b32_e32 v118, 8
	s_and_saveexec_b64 s[24:25], s[18:19]
	s_cbranch_execz .LBB2_81
; %bb.78:
	v_cmp_nge_f64_e64 s[18:19], v[110:111], v[34:35]
	v_cmp_nge_f64_e64 s[20:21], v[116:117], v[34:35]
	s_or_b64 s[20:21], s[18:19], s[20:21]
	v_cmp_nge_f64_e64 s[18:19], v[104:105], v[34:35]
	s_or_b64 s[18:19], s[20:21], s[18:19]
	v_mov_b32_e32 v118, 4
	s_and_saveexec_b64 s[26:27], s[18:19]
	s_cbranch_execz .LBB2_80
; %bb.79:
	v_cmp_le_f64_e64 s[18:19], 0, v[110:111]
	v_cmp_le_f64_e64 s[20:21], 0, v[116:117]
	s_and_b64 s[20:21], s[18:19], s[20:21]
	v_cmp_le_f64_e64 s[18:19], 0, v[104:105]
	s_and_b64 s[20:21], s[20:21], s[18:19]
	v_cmp_lt_f64_e64 s[18:19], v[110:111], v[34:35]
	s_and_b64 s[20:21], s[18:19], s[20:21]
	v_cmp_lt_f64_e64 s[18:19], v[116:117], v[34:35]
	;; [unrolled: 2-line block ×3, first 2 shown]
	v_mov_b32_e32 v116, 0
	v_mov_b32_e32 v117, 8
	s_and_b64 s[18:19], s[20:21], s[18:19]
	v_cndmask_b32_e64 v118, v117, v116, s[18:19]
.LBB2_80:
	s_or_b64 exec, exec, s[26:27]
.LBB2_81:
	s_or_b64 exec, exec, s[24:25]
	buffer_load_dword v116, v118, s[0:3], 0 offen
	s_waitcnt vmcnt(0)
	v_or_b32_e32 v116, 0x80, v116
	buffer_store_dword v116, v118, s[0:3], 0 offen
.LBB2_82:
	s_or_b64 exec, exec, s[22:23]
	v_add_f64 v[116:117], v[80:81], v[20:21]
	v_add_f64 v[116:117], v[116:117], v[24:25]
	s_mov_b32 s18, 0
	v_add_f64 v[116:117], v[86:87], v[116:117]
	s_mov_b32 s19, 0x3fd00000
	v_fma_f64 v[116:117], v[116:117], s[18:19], -v[0:1]
	v_mul_f64 v[120:121], v[116:117], v[32:33]
	v_add_f64 v[116:117], v[76:77], v[16:17]
	v_add_f64 v[116:117], v[116:117], v[22:23]
	;; [unrolled: 1-line block ×3, first 2 shown]
	v_fma_f64 v[116:117], v[116:117], s[18:19], -v[8:9]
	v_mul_f64 v[118:119], v[116:117], v[6:7]
	v_add_f64 v[116:117], v[74:75], v[12:13]
	v_add_f64 v[116:117], v[116:117], v[18:19]
	;; [unrolled: 1-line block ×3, first 2 shown]
	v_fma_f64 v[116:117], v[116:117], s[18:19], -v[4:5]
	v_cmp_gt_f64_e64 s[18:19], 0, v[120:121]
	s_and_b64 s[20:21], s[6:7], s[18:19]
	s_and_b64 s[20:21], s[20:21], vcc
	s_xor_b64 s[20:21], s[20:21], -1
	s_and_saveexec_b64 s[24:25], s[20:21]
	s_cbranch_execz .LBB2_92
; %bb.83:
	v_cmp_nle_f64_e64 s[20:21], 1.0, v[66:67]
	v_cmp_nle_f64_e64 s[22:23], 1.0, v[120:121]
	s_or_b64 s[22:23], s[20:21], s[22:23]
	v_cmp_nle_f64_e64 s[20:21], 1.0, v[48:49]
	s_or_b64 s[20:21], s[22:23], s[20:21]
	s_and_b64 exec, exec, s[20:21]
	s_cbranch_execz .LBB2_92
; %bb.84:
	v_cmp_ngt_f64_e64 s[20:21], 0, v[60:61]
	v_cmp_ngt_f64_e64 s[22:23], 0, v[118:119]
	s_or_b64 s[22:23], s[20:21], s[22:23]
	v_cmp_ngt_f64_e64 s[20:21], 0, v[46:47]
	s_or_b64 s[20:21], s[22:23], s[20:21]
	s_and_b64 exec, exec, s[20:21]
	s_cbranch_execz .LBB2_92
; %bb.85:
	v_cmp_nle_f64_e64 s[20:21], 1.0, v[60:61]
	v_cmp_nle_f64_e64 s[22:23], 1.0, v[118:119]
	s_or_b64 s[22:23], s[20:21], s[22:23]
	v_cmp_nle_f64_e64 s[20:21], 1.0, v[46:47]
	s_or_b64 s[20:21], s[22:23], s[20:21]
	s_and_b64 exec, exec, s[20:21]
	s_cbranch_execz .LBB2_92
; %bb.86:
	v_cmp_ngt_f64_e64 s[20:21], 0, v[56:57]
	v_cmp_ngt_f64_e64 s[22:23], 0, v[116:117]
	s_or_b64 s[22:23], s[20:21], s[22:23]
	v_cmp_ngt_f64_e64 s[20:21], 0, v[44:45]
	s_or_b64 s[20:21], s[22:23], s[20:21]
	s_and_b64 exec, exec, s[20:21]
	s_cbranch_execz .LBB2_92
; %bb.87:
	v_cmp_le_f64_e64 s[20:21], 0, v[66:67]
	v_cmp_le_f64_e64 s[22:23], 0, v[120:121]
	s_and_b64 s[22:23], s[20:21], s[22:23]
	v_cmp_le_f64_e64 s[20:21], 0, v[48:49]
	s_and_b64 s[22:23], s[22:23], s[20:21]
	v_cmp_gt_f64_e64 s[20:21], 1.0, v[66:67]
	s_and_b64 s[22:23], s[20:21], s[22:23]
	v_cmp_gt_f64_e64 s[20:21], 1.0, v[120:121]
	s_and_b64 s[22:23], s[22:23], s[20:21]
	v_cmp_gt_f64_e64 s[20:21], 1.0, v[48:49]
	s_and_b64 s[22:23], s[22:23], s[20:21]
	v_cmp_le_f64_e64 s[20:21], 0, v[60:61]
	s_and_b64 s[22:23], s[20:21], s[22:23]
	v_cmp_le_f64_e64 s[20:21], 0, v[118:119]
	;; [unrolled: 2-line block ×3, first 2 shown]
	s_and_b64 s[22:23], s[22:23], s[20:21]
	v_cmp_gt_f64_e64 s[20:21], 1.0, v[60:61]
	s_and_b64 s[22:23], s[20:21], s[22:23]
	v_cmp_gt_f64_e64 s[20:21], 1.0, v[118:119]
	;; [unrolled: 2-line block ×3, first 2 shown]
	s_and_b64 s[20:21], s[22:23], s[20:21]
	v_mov_b32_e32 v122, 8
	s_and_saveexec_b64 s[26:27], s[20:21]
	s_cbranch_execz .LBB2_91
; %bb.88:
	v_cmp_nge_f64_e64 s[20:21], v[56:57], v[34:35]
	v_cmp_nge_f64_e64 s[22:23], v[116:117], v[34:35]
	s_or_b64 s[22:23], s[20:21], s[22:23]
	v_cmp_nge_f64_e64 s[20:21], v[44:45], v[34:35]
	s_or_b64 s[20:21], s[22:23], s[20:21]
	v_mov_b32_e32 v122, 4
	s_and_saveexec_b64 s[28:29], s[20:21]
	s_cbranch_execz .LBB2_90
; %bb.89:
	v_cmp_le_f64_e64 s[20:21], 0, v[56:57]
	v_cmp_le_f64_e64 s[22:23], 0, v[116:117]
	s_and_b64 s[22:23], s[20:21], s[22:23]
	v_cmp_le_f64_e64 s[20:21], 0, v[44:45]
	s_and_b64 s[22:23], s[22:23], s[20:21]
	v_cmp_lt_f64_e64 s[20:21], v[56:57], v[34:35]
	s_and_b64 s[22:23], s[20:21], s[22:23]
	v_cmp_lt_f64_e64 s[20:21], v[116:117], v[34:35]
	;; [unrolled: 2-line block ×3, first 2 shown]
	v_mov_b32_e32 v122, 0
	v_mov_b32_e32 v123, 8
	s_and_b64 s[20:21], s[22:23], s[20:21]
	v_cndmask_b32_e64 v122, v123, v122, s[20:21]
.LBB2_90:
	s_or_b64 exec, exec, s[28:29]
.LBB2_91:
	s_or_b64 exec, exec, s[26:27]
	buffer_load_dword v123, v122, s[0:3], 0 offen
	s_waitcnt vmcnt(0)
	v_or_b32_e32 v123, 0x100, v123
	buffer_store_dword v123, v122, s[0:3], 0 offen
.LBB2_92:
	s_or_b64 exec, exec, s[24:25]
	s_and_b64 s[20:21], vcc, s[18:19]
	s_and_b64 s[20:21], s[20:21], s[10:11]
	s_xor_b64 s[20:21], s[20:21], -1
	s_and_saveexec_b64 s[24:25], s[20:21]
	s_cbranch_execz .LBB2_102
; %bb.93:
	v_cmp_nle_f64_e64 s[20:21], 1.0, v[48:49]
	v_cmp_nle_f64_e64 s[22:23], 1.0, v[120:121]
	s_or_b64 s[22:23], s[20:21], s[22:23]
	v_cmp_nle_f64_e64 s[20:21], 1.0, v[72:73]
	s_or_b64 s[20:21], s[22:23], s[20:21]
	s_and_b64 exec, exec, s[20:21]
	s_cbranch_execz .LBB2_102
; %bb.94:
	v_cmp_ngt_f64_e64 s[20:21], 0, v[46:47]
	v_cmp_ngt_f64_e64 s[22:23], 0, v[118:119]
	s_or_b64 s[22:23], s[20:21], s[22:23]
	v_cmp_ngt_f64_e64 s[20:21], 0, v[70:71]
	s_or_b64 s[20:21], s[22:23], s[20:21]
	s_and_b64 exec, exec, s[20:21]
	s_cbranch_execz .LBB2_102
; %bb.95:
	v_cmp_nle_f64_e64 s[20:21], 1.0, v[46:47]
	v_cmp_nle_f64_e64 s[22:23], 1.0, v[118:119]
	s_or_b64 s[22:23], s[20:21], s[22:23]
	v_cmp_nle_f64_e64 s[20:21], 1.0, v[70:71]
	s_or_b64 s[20:21], s[22:23], s[20:21]
	s_and_b64 exec, exec, s[20:21]
	s_cbranch_execz .LBB2_102
; %bb.96:
	v_cmp_ngt_f64_e64 s[20:21], 0, v[44:45]
	v_cmp_ngt_f64_e64 s[22:23], 0, v[116:117]
	s_or_b64 s[22:23], s[20:21], s[22:23]
	v_cmp_ngt_f64_e64 s[20:21], 0, v[62:63]
	s_or_b64 s[20:21], s[22:23], s[20:21]
	s_and_b64 exec, exec, s[20:21]
	s_cbranch_execz .LBB2_102
; %bb.97:
	v_cmp_le_f64_e64 s[20:21], 0, v[48:49]
	v_cmp_le_f64_e64 s[22:23], 0, v[120:121]
	s_and_b64 s[22:23], s[20:21], s[22:23]
	v_cmp_le_f64_e64 s[20:21], 0, v[72:73]
	s_and_b64 s[22:23], s[22:23], s[20:21]
	v_cmp_gt_f64_e64 s[20:21], 1.0, v[48:49]
	s_and_b64 s[22:23], s[20:21], s[22:23]
	v_cmp_gt_f64_e64 s[20:21], 1.0, v[120:121]
	;; [unrolled: 2-line block ×3, first 2 shown]
	s_and_b64 s[22:23], s[22:23], s[20:21]
	v_cmp_le_f64_e64 s[20:21], 0, v[46:47]
	s_and_b64 s[22:23], s[20:21], s[22:23]
	v_cmp_le_f64_e64 s[20:21], 0, v[118:119]
	;; [unrolled: 2-line block ×3, first 2 shown]
	s_and_b64 s[22:23], s[22:23], s[20:21]
	v_cmp_gt_f64_e64 s[20:21], 1.0, v[46:47]
	s_and_b64 s[22:23], s[20:21], s[22:23]
	v_cmp_gt_f64_e64 s[20:21], 1.0, v[118:119]
	;; [unrolled: 2-line block ×3, first 2 shown]
	s_and_b64 s[20:21], s[22:23], s[20:21]
	v_mov_b32_e32 v122, 8
	s_and_saveexec_b64 s[26:27], s[20:21]
	s_cbranch_execz .LBB2_101
; %bb.98:
	v_cmp_nge_f64_e64 s[20:21], v[44:45], v[34:35]
	v_cmp_nge_f64_e64 s[22:23], v[116:117], v[34:35]
	s_or_b64 s[22:23], s[20:21], s[22:23]
	v_cmp_nge_f64_e64 s[20:21], v[62:63], v[34:35]
	s_or_b64 s[20:21], s[22:23], s[20:21]
	v_mov_b32_e32 v122, 4
	s_and_saveexec_b64 s[28:29], s[20:21]
	s_cbranch_execz .LBB2_100
; %bb.99:
	v_cmp_le_f64_e64 s[20:21], 0, v[44:45]
	v_cmp_le_f64_e64 s[22:23], 0, v[116:117]
	s_and_b64 s[22:23], s[20:21], s[22:23]
	v_cmp_le_f64_e64 s[20:21], 0, v[62:63]
	s_and_b64 s[22:23], s[22:23], s[20:21]
	v_cmp_lt_f64_e64 s[20:21], v[44:45], v[34:35]
	s_and_b64 s[22:23], s[20:21], s[22:23]
	v_cmp_lt_f64_e64 s[20:21], v[116:117], v[34:35]
	;; [unrolled: 2-line block ×3, first 2 shown]
	v_mov_b32_e32 v122, 0
	v_mov_b32_e32 v123, 8
	s_and_b64 s[20:21], s[22:23], s[20:21]
	v_cndmask_b32_e64 v122, v123, v122, s[20:21]
.LBB2_100:
	s_or_b64 exec, exec, s[28:29]
.LBB2_101:
	s_or_b64 exec, exec, s[26:27]
	buffer_load_dword v123, v122, s[0:3], 0 offen
	s_waitcnt vmcnt(0)
	v_or_b32_e32 v123, 0x200, v123
	buffer_store_dword v123, v122, s[0:3], 0 offen
.LBB2_102:
	s_or_b64 exec, exec, s[24:25]
	s_and_b64 s[20:21], s[10:11], s[18:19]
	s_and_b64 s[20:21], s[14:15], s[20:21]
	s_xor_b64 s[20:21], s[20:21], -1
	s_and_saveexec_b64 s[24:25], s[20:21]
	s_cbranch_execz .LBB2_112
; %bb.103:
	v_cmp_nle_f64_e64 s[20:21], 1.0, v[72:73]
	v_cmp_nle_f64_e64 s[22:23], 1.0, v[120:121]
	s_or_b64 s[22:23], s[20:21], s[22:23]
	v_cmp_nle_f64_e64 s[20:21], 1.0, v[108:109]
	s_or_b64 s[20:21], s[20:21], s[22:23]
	s_and_b64 exec, exec, s[20:21]
	s_cbranch_execz .LBB2_112
; %bb.104:
	v_cmp_ngt_f64_e64 s[20:21], 0, v[70:71]
	v_cmp_ngt_f64_e64 s[22:23], 0, v[118:119]
	s_or_b64 s[22:23], s[20:21], s[22:23]
	v_cmp_ngt_f64_e64 s[20:21], 0, v[106:107]
	s_or_b64 s[20:21], s[22:23], s[20:21]
	s_and_b64 exec, exec, s[20:21]
	s_cbranch_execz .LBB2_112
; %bb.105:
	v_cmp_nle_f64_e64 s[20:21], 1.0, v[70:71]
	v_cmp_nle_f64_e64 s[22:23], 1.0, v[118:119]
	s_or_b64 s[22:23], s[20:21], s[22:23]
	v_cmp_nle_f64_e64 s[20:21], 1.0, v[106:107]
	s_or_b64 s[20:21], s[22:23], s[20:21]
	s_and_b64 exec, exec, s[20:21]
	s_cbranch_execz .LBB2_112
; %bb.106:
	v_cmp_ngt_f64_e64 s[20:21], 0, v[62:63]
	v_cmp_ngt_f64_e64 s[22:23], 0, v[116:117]
	s_or_b64 s[22:23], s[20:21], s[22:23]
	v_cmp_ngt_f64_e64 s[20:21], 0, v[104:105]
	s_or_b64 s[20:21], s[22:23], s[20:21]
	s_and_b64 exec, exec, s[20:21]
	s_cbranch_execz .LBB2_112
; %bb.107:
	v_cmp_le_f64_e64 s[20:21], 0, v[72:73]
	v_cmp_le_f64_e64 s[22:23], 0, v[120:121]
	s_and_b64 s[22:23], s[20:21], s[22:23]
	v_cmp_le_f64_e64 s[20:21], 0, v[108:109]
	s_and_b64 s[22:23], s[20:21], s[22:23]
	v_cmp_gt_f64_e64 s[20:21], 1.0, v[72:73]
	s_and_b64 s[22:23], s[20:21], s[22:23]
	v_cmp_gt_f64_e64 s[20:21], 1.0, v[120:121]
	;; [unrolled: 2-line block ×3, first 2 shown]
	s_and_b64 s[22:23], s[20:21], s[22:23]
	v_cmp_le_f64_e64 s[20:21], 0, v[70:71]
	s_and_b64 s[22:23], s[20:21], s[22:23]
	v_cmp_le_f64_e64 s[20:21], 0, v[118:119]
	;; [unrolled: 2-line block ×3, first 2 shown]
	s_and_b64 s[22:23], s[22:23], s[20:21]
	v_cmp_gt_f64_e64 s[20:21], 1.0, v[70:71]
	s_and_b64 s[22:23], s[20:21], s[22:23]
	v_cmp_gt_f64_e64 s[20:21], 1.0, v[118:119]
	;; [unrolled: 2-line block ×3, first 2 shown]
	s_and_b64 s[20:21], s[22:23], s[20:21]
	v_mov_b32_e32 v122, 8
	s_and_saveexec_b64 s[26:27], s[20:21]
	s_cbranch_execz .LBB2_111
; %bb.108:
	v_cmp_nge_f64_e64 s[20:21], v[62:63], v[34:35]
	v_cmp_nge_f64_e64 s[22:23], v[116:117], v[34:35]
	s_or_b64 s[22:23], s[20:21], s[22:23]
	v_cmp_nge_f64_e64 s[20:21], v[104:105], v[34:35]
	s_or_b64 s[20:21], s[22:23], s[20:21]
	v_mov_b32_e32 v122, 4
	s_and_saveexec_b64 s[28:29], s[20:21]
	s_cbranch_execz .LBB2_110
; %bb.109:
	v_cmp_le_f64_e64 s[20:21], 0, v[62:63]
	v_cmp_le_f64_e64 s[22:23], 0, v[116:117]
	s_and_b64 s[22:23], s[20:21], s[22:23]
	v_cmp_le_f64_e64 s[20:21], 0, v[104:105]
	s_and_b64 s[22:23], s[22:23], s[20:21]
	v_cmp_lt_f64_e64 s[20:21], v[62:63], v[34:35]
	s_and_b64 s[22:23], s[20:21], s[22:23]
	v_cmp_lt_f64_e64 s[20:21], v[116:117], v[34:35]
	s_and_b64 s[22:23], s[22:23], s[20:21]
	v_cmp_lt_f64_e64 s[20:21], v[104:105], v[34:35]
	v_mov_b32_e32 v122, 0
	v_mov_b32_e32 v123, 8
	s_and_b64 s[20:21], s[22:23], s[20:21]
	v_cndmask_b32_e64 v122, v123, v122, s[20:21]
.LBB2_110:
	s_or_b64 exec, exec, s[28:29]
.LBB2_111:
	s_or_b64 exec, exec, s[26:27]
	buffer_load_dword v123, v122, s[0:3], 0 offen
	s_waitcnt vmcnt(0)
	v_or_b32_e32 v123, 0x400, v123
	buffer_store_dword v123, v122, s[0:3], 0 offen
.LBB2_112:
	s_or_b64 exec, exec, s[24:25]
	s_and_b64 s[18:19], s[14:15], s[18:19]
	s_and_b64 s[18:19], s[6:7], s[18:19]
	s_xor_b64 s[18:19], s[18:19], -1
	s_and_saveexec_b64 s[22:23], s[18:19]
	s_cbranch_execz .LBB2_122
; %bb.113:
	v_cmp_nle_f64_e64 s[18:19], 1.0, v[108:109]
	v_cmp_nle_f64_e64 s[20:21], 1.0, v[120:121]
	s_or_b64 s[20:21], s[18:19], s[20:21]
	v_cmp_nle_f64_e64 s[18:19], 1.0, v[66:67]
	s_or_b64 s[18:19], s[18:19], s[20:21]
	s_and_b64 exec, exec, s[18:19]
	s_cbranch_execz .LBB2_122
; %bb.114:
	v_cmp_ngt_f64_e64 s[18:19], 0, v[106:107]
	v_cmp_ngt_f64_e64 s[20:21], 0, v[118:119]
	s_or_b64 s[20:21], s[18:19], s[20:21]
	v_cmp_ngt_f64_e64 s[18:19], 0, v[60:61]
	s_or_b64 s[18:19], s[20:21], s[18:19]
	s_and_b64 exec, exec, s[18:19]
	s_cbranch_execz .LBB2_122
; %bb.115:
	v_cmp_nle_f64_e64 s[18:19], 1.0, v[106:107]
	v_cmp_nle_f64_e64 s[20:21], 1.0, v[118:119]
	s_or_b64 s[20:21], s[18:19], s[20:21]
	v_cmp_nle_f64_e64 s[18:19], 1.0, v[60:61]
	s_or_b64 s[18:19], s[20:21], s[18:19]
	s_and_b64 exec, exec, s[18:19]
	s_cbranch_execz .LBB2_122
; %bb.116:
	v_cmp_ngt_f64_e64 s[18:19], 0, v[104:105]
	v_cmp_ngt_f64_e64 s[20:21], 0, v[116:117]
	s_or_b64 s[20:21], s[18:19], s[20:21]
	v_cmp_ngt_f64_e64 s[18:19], 0, v[56:57]
	s_or_b64 s[18:19], s[20:21], s[18:19]
	s_and_b64 exec, exec, s[18:19]
	s_cbranch_execz .LBB2_122
; %bb.117:
	v_cmp_le_f64_e64 s[18:19], 0, v[108:109]
	v_cmp_le_f64_e64 s[20:21], 0, v[120:121]
	s_and_b64 s[20:21], s[18:19], s[20:21]
	v_cmp_le_f64_e64 s[18:19], 0, v[66:67]
	s_and_b64 s[20:21], s[18:19], s[20:21]
	v_cmp_gt_f64_e64 s[18:19], 1.0, v[108:109]
	s_and_b64 s[20:21], s[18:19], s[20:21]
	v_cmp_gt_f64_e64 s[18:19], 1.0, v[120:121]
	;; [unrolled: 2-line block ×3, first 2 shown]
	s_and_b64 s[20:21], s[18:19], s[20:21]
	v_cmp_le_f64_e64 s[18:19], 0, v[106:107]
	s_and_b64 s[20:21], s[18:19], s[20:21]
	v_cmp_le_f64_e64 s[18:19], 0, v[118:119]
	s_and_b64 s[20:21], s[20:21], s[18:19]
	v_cmp_le_f64_e64 s[18:19], 0, v[60:61]
	s_and_b64 s[20:21], s[20:21], s[18:19]
	v_cmp_gt_f64_e64 s[18:19], 1.0, v[106:107]
	s_and_b64 s[20:21], s[18:19], s[20:21]
	v_cmp_gt_f64_e64 s[18:19], 1.0, v[118:119]
	;; [unrolled: 2-line block ×3, first 2 shown]
	s_and_b64 s[18:19], s[20:21], s[18:19]
	v_mov_b32_e32 v118, 8
	s_and_saveexec_b64 s[24:25], s[18:19]
	s_cbranch_execz .LBB2_121
; %bb.118:
	v_cmp_nge_f64_e64 s[18:19], v[104:105], v[34:35]
	v_cmp_nge_f64_e64 s[20:21], v[116:117], v[34:35]
	s_or_b64 s[20:21], s[18:19], s[20:21]
	v_cmp_nge_f64_e64 s[18:19], v[56:57], v[34:35]
	s_or_b64 s[18:19], s[20:21], s[18:19]
	v_mov_b32_e32 v118, 4
	s_and_saveexec_b64 s[26:27], s[18:19]
	s_cbranch_execz .LBB2_120
; %bb.119:
	v_cmp_le_f64_e64 s[18:19], 0, v[104:105]
	v_cmp_le_f64_e64 s[20:21], 0, v[116:117]
	s_and_b64 s[20:21], s[18:19], s[20:21]
	v_cmp_le_f64_e64 s[18:19], 0, v[56:57]
	s_and_b64 s[20:21], s[20:21], s[18:19]
	v_cmp_lt_f64_e64 s[18:19], v[104:105], v[34:35]
	s_and_b64 s[20:21], s[18:19], s[20:21]
	v_cmp_lt_f64_e64 s[18:19], v[116:117], v[34:35]
	;; [unrolled: 2-line block ×3, first 2 shown]
	v_mov_b32_e32 v116, 0
	v_mov_b32_e32 v117, 8
	s_and_b64 s[18:19], s[20:21], s[18:19]
	v_cndmask_b32_e64 v118, v117, v116, s[18:19]
.LBB2_120:
	s_or_b64 exec, exec, s[26:27]
.LBB2_121:
	s_or_b64 exec, exec, s[24:25]
	buffer_load_dword v116, v118, s[0:3], 0 offen
	s_waitcnt vmcnt(0)
	v_or_b32_e32 v116, 0x800, v116
	buffer_store_dword v116, v118, s[0:3], 0 offen
.LBB2_122:
	s_or_b64 exec, exec, s[22:23]
	v_add_f64 v[116:117], v[88:89], v[96:97]
	v_add_f64 v[116:117], v[116:117], v[42:43]
	s_mov_b32 s18, 0
	v_add_f64 v[116:117], v[28:29], v[116:117]
	s_mov_b32 s19, 0x3fd00000
	v_fma_f64 v[116:117], v[116:117], s[18:19], -v[0:1]
	v_mul_f64 v[120:121], v[116:117], v[32:33]
	v_add_f64 v[116:117], v[90:91], v[92:93]
	v_add_f64 v[116:117], v[116:117], v[38:39]
	;; [unrolled: 1-line block ×3, first 2 shown]
	v_fma_f64 v[116:117], v[116:117], s[18:19], -v[8:9]
	v_mul_f64 v[118:119], v[116:117], v[6:7]
	v_add_f64 v[116:117], v[84:85], v[94:95]
	v_add_f64 v[116:117], v[116:117], v[40:41]
	v_add_f64 v[116:117], v[26:27], v[116:117]
	v_fma_f64 v[116:117], v[116:117], s[18:19], -v[4:5]
	v_cmp_gt_f64_e64 s[18:19], 0, v[120:121]
	s_and_b64 s[20:21], s[8:9], s[18:19]
	s_and_b64 s[20:21], s[20:21], s[16:17]
	s_xor_b64 s[20:21], s[20:21], -1
	s_and_saveexec_b64 s[24:25], s[20:21]
	s_cbranch_execz .LBB2_132
; %bb.123:
	v_cmp_nle_f64_e64 s[20:21], 1.0, v[68:69]
	v_cmp_nle_f64_e64 s[22:23], 1.0, v[120:121]
	s_or_b64 s[22:23], s[20:21], s[22:23]
	v_cmp_nle_f64_e64 s[20:21], 1.0, v[114:115]
	s_or_b64 s[20:21], s[22:23], s[20:21]
	s_and_b64 exec, exec, s[20:21]
	s_cbranch_execz .LBB2_132
; %bb.124:
	v_cmp_ngt_f64_e64 s[20:21], 0, v[64:65]
	v_cmp_ngt_f64_e64 s[22:23], 0, v[118:119]
	s_or_b64 s[22:23], s[20:21], s[22:23]
	v_cmp_ngt_f64_e64 s[20:21], 0, v[112:113]
	s_or_b64 s[20:21], s[22:23], s[20:21]
	s_and_b64 exec, exec, s[20:21]
	s_cbranch_execz .LBB2_132
; %bb.125:
	v_cmp_nle_f64_e64 s[20:21], 1.0, v[64:65]
	v_cmp_nle_f64_e64 s[22:23], 1.0, v[118:119]
	s_or_b64 s[22:23], s[20:21], s[22:23]
	v_cmp_nle_f64_e64 s[20:21], 1.0, v[112:113]
	s_or_b64 s[20:21], s[22:23], s[20:21]
	s_and_b64 exec, exec, s[20:21]
	s_cbranch_execz .LBB2_132
; %bb.126:
	v_cmp_ngt_f64_e64 s[20:21], 0, v[58:59]
	v_cmp_ngt_f64_e64 s[22:23], 0, v[116:117]
	s_or_b64 s[22:23], s[20:21], s[22:23]
	v_cmp_ngt_f64_e64 s[20:21], 0, v[110:111]
	s_or_b64 s[20:21], s[22:23], s[20:21]
	s_and_b64 exec, exec, s[20:21]
	s_cbranch_execz .LBB2_132
; %bb.127:
	v_cmp_le_f64_e64 s[20:21], 0, v[68:69]
	v_cmp_le_f64_e64 s[22:23], 0, v[120:121]
	s_and_b64 s[22:23], s[20:21], s[22:23]
	v_cmp_le_f64_e64 s[20:21], 0, v[114:115]
	s_and_b64 s[22:23], s[22:23], s[20:21]
	v_cmp_gt_f64_e64 s[20:21], 1.0, v[68:69]
	s_and_b64 s[22:23], s[20:21], s[22:23]
	v_cmp_gt_f64_e64 s[20:21], 1.0, v[120:121]
	;; [unrolled: 2-line block ×3, first 2 shown]
	s_and_b64 s[22:23], s[22:23], s[20:21]
	v_cmp_le_f64_e64 s[20:21], 0, v[64:65]
	s_and_b64 s[22:23], s[20:21], s[22:23]
	v_cmp_le_f64_e64 s[20:21], 0, v[118:119]
	;; [unrolled: 2-line block ×3, first 2 shown]
	s_and_b64 s[22:23], s[22:23], s[20:21]
	v_cmp_gt_f64_e64 s[20:21], 1.0, v[64:65]
	s_and_b64 s[22:23], s[20:21], s[22:23]
	v_cmp_gt_f64_e64 s[20:21], 1.0, v[118:119]
	;; [unrolled: 2-line block ×3, first 2 shown]
	s_and_b64 s[20:21], s[22:23], s[20:21]
	v_mov_b32_e32 v122, 8
	s_and_saveexec_b64 s[26:27], s[20:21]
	s_cbranch_execz .LBB2_131
; %bb.128:
	v_cmp_nge_f64_e64 s[20:21], v[58:59], v[34:35]
	v_cmp_nge_f64_e64 s[22:23], v[116:117], v[34:35]
	s_or_b64 s[22:23], s[20:21], s[22:23]
	v_cmp_nge_f64_e64 s[20:21], v[110:111], v[34:35]
	s_or_b64 s[20:21], s[22:23], s[20:21]
	v_mov_b32_e32 v122, 4
	s_and_saveexec_b64 s[28:29], s[20:21]
	s_cbranch_execz .LBB2_130
; %bb.129:
	v_cmp_le_f64_e64 s[20:21], 0, v[58:59]
	v_cmp_le_f64_e64 s[22:23], 0, v[116:117]
	s_and_b64 s[22:23], s[20:21], s[22:23]
	v_cmp_le_f64_e64 s[20:21], 0, v[110:111]
	s_and_b64 s[22:23], s[22:23], s[20:21]
	v_cmp_lt_f64_e64 s[20:21], v[58:59], v[34:35]
	s_and_b64 s[22:23], s[20:21], s[22:23]
	v_cmp_lt_f64_e64 s[20:21], v[116:117], v[34:35]
	;; [unrolled: 2-line block ×3, first 2 shown]
	v_mov_b32_e32 v122, 0
	v_mov_b32_e32 v123, 8
	s_and_b64 s[20:21], s[22:23], s[20:21]
	v_cndmask_b32_e64 v122, v123, v122, s[20:21]
.LBB2_130:
	s_or_b64 exec, exec, s[28:29]
.LBB2_131:
	s_or_b64 exec, exec, s[26:27]
	buffer_load_dword v123, v122, s[0:3], 0 offen
	s_waitcnt vmcnt(0)
	v_or_b32_e32 v123, 0x1000, v123
	buffer_store_dword v123, v122, s[0:3], 0 offen
.LBB2_132:
	s_or_b64 exec, exec, s[24:25]
	s_and_b64 s[20:21], s[16:17], s[18:19]
	s_and_b64 s[20:21], s[20:21], s[12:13]
	s_xor_b64 s[20:21], s[20:21], -1
	s_and_saveexec_b64 s[24:25], s[20:21]
	s_cbranch_execz .LBB2_142
; %bb.133:
	v_cmp_nle_f64_e64 s[20:21], 1.0, v[114:115]
	v_cmp_nle_f64_e64 s[22:23], 1.0, v[120:121]
	s_or_b64 s[22:23], s[20:21], s[22:23]
	v_cmp_nle_f64_e64 s[20:21], 1.0, v[102:103]
	s_or_b64 s[20:21], s[22:23], s[20:21]
	s_and_b64 exec, exec, s[20:21]
	s_cbranch_execz .LBB2_142
; %bb.134:
	v_cmp_ngt_f64_e64 s[20:21], 0, v[112:113]
	v_cmp_ngt_f64_e64 s[22:23], 0, v[118:119]
	s_or_b64 s[22:23], s[20:21], s[22:23]
	v_cmp_ngt_f64_e64 s[20:21], 0, v[100:101]
	s_or_b64 s[20:21], s[22:23], s[20:21]
	s_and_b64 exec, exec, s[20:21]
	s_cbranch_execz .LBB2_142
; %bb.135:
	v_cmp_nle_f64_e64 s[20:21], 1.0, v[112:113]
	v_cmp_nle_f64_e64 s[22:23], 1.0, v[118:119]
	s_or_b64 s[22:23], s[20:21], s[22:23]
	v_cmp_nle_f64_e64 s[20:21], 1.0, v[100:101]
	s_or_b64 s[20:21], s[22:23], s[20:21]
	s_and_b64 exec, exec, s[20:21]
	s_cbranch_execz .LBB2_142
; %bb.136:
	v_cmp_ngt_f64_e64 s[20:21], 0, v[110:111]
	v_cmp_ngt_f64_e64 s[22:23], 0, v[116:117]
	s_or_b64 s[22:23], s[20:21], s[22:23]
	v_cmp_ngt_f64_e64 s[20:21], 0, v[98:99]
	s_or_b64 s[20:21], s[22:23], s[20:21]
	s_and_b64 exec, exec, s[20:21]
	s_cbranch_execz .LBB2_142
; %bb.137:
	v_cmp_le_f64_e64 s[20:21], 0, v[114:115]
	v_cmp_le_f64_e64 s[22:23], 0, v[120:121]
	s_and_b64 s[22:23], s[20:21], s[22:23]
	v_cmp_le_f64_e64 s[20:21], 0, v[102:103]
	s_and_b64 s[22:23], s[22:23], s[20:21]
	v_cmp_gt_f64_e64 s[20:21], 1.0, v[114:115]
	s_and_b64 s[22:23], s[20:21], s[22:23]
	v_cmp_gt_f64_e64 s[20:21], 1.0, v[120:121]
	;; [unrolled: 2-line block ×3, first 2 shown]
	s_and_b64 s[22:23], s[22:23], s[20:21]
	v_cmp_le_f64_e64 s[20:21], 0, v[112:113]
	s_and_b64 s[22:23], s[20:21], s[22:23]
	v_cmp_le_f64_e64 s[20:21], 0, v[118:119]
	;; [unrolled: 2-line block ×3, first 2 shown]
	s_and_b64 s[22:23], s[22:23], s[20:21]
	v_cmp_gt_f64_e64 s[20:21], 1.0, v[112:113]
	s_and_b64 s[22:23], s[20:21], s[22:23]
	v_cmp_gt_f64_e64 s[20:21], 1.0, v[118:119]
	;; [unrolled: 2-line block ×3, first 2 shown]
	s_and_b64 s[20:21], s[22:23], s[20:21]
	v_mov_b32_e32 v122, 8
	s_and_saveexec_b64 s[26:27], s[20:21]
	s_cbranch_execz .LBB2_141
; %bb.138:
	v_cmp_nge_f64_e64 s[20:21], v[110:111], v[34:35]
	v_cmp_nge_f64_e64 s[22:23], v[116:117], v[34:35]
	s_or_b64 s[22:23], s[20:21], s[22:23]
	v_cmp_nge_f64_e64 s[20:21], v[98:99], v[34:35]
	s_or_b64 s[20:21], s[22:23], s[20:21]
	v_mov_b32_e32 v122, 4
	s_and_saveexec_b64 s[28:29], s[20:21]
	s_cbranch_execz .LBB2_140
; %bb.139:
	v_cmp_le_f64_e64 s[20:21], 0, v[110:111]
	v_cmp_le_f64_e64 s[22:23], 0, v[116:117]
	s_and_b64 s[22:23], s[20:21], s[22:23]
	v_cmp_le_f64_e64 s[20:21], 0, v[98:99]
	s_and_b64 s[22:23], s[22:23], s[20:21]
	v_cmp_lt_f64_e64 s[20:21], v[110:111], v[34:35]
	s_and_b64 s[22:23], s[20:21], s[22:23]
	v_cmp_lt_f64_e64 s[20:21], v[116:117], v[34:35]
	s_and_b64 s[22:23], s[22:23], s[20:21]
	v_cmp_lt_f64_e64 s[20:21], v[98:99], v[34:35]
	v_mov_b32_e32 v122, 0
	v_mov_b32_e32 v123, 8
	s_and_b64 s[20:21], s[22:23], s[20:21]
	v_cndmask_b32_e64 v122, v123, v122, s[20:21]
.LBB2_140:
	s_or_b64 exec, exec, s[28:29]
.LBB2_141:
	s_or_b64 exec, exec, s[26:27]
	buffer_load_dword v123, v122, s[0:3], 0 offen
	s_waitcnt vmcnt(0)
	v_or_b32_e32 v123, 0x2000, v123
	buffer_store_dword v123, v122, s[0:3], 0 offen
.LBB2_142:
	s_or_b64 exec, exec, s[24:25]
	s_and_b64 s[20:21], s[12:13], s[18:19]
	s_and_b64 s[20:21], s[20:21], s[4:5]
	s_xor_b64 s[20:21], s[20:21], -1
	s_and_saveexec_b64 s[24:25], s[20:21]
	s_cbranch_execz .LBB2_152
; %bb.143:
	v_cmp_nle_f64_e64 s[20:21], 1.0, v[102:103]
	v_cmp_nle_f64_e64 s[22:23], 1.0, v[120:121]
	s_or_b64 s[22:23], s[20:21], s[22:23]
	v_cmp_nle_f64_e64 s[20:21], 1.0, v[54:55]
	s_or_b64 s[20:21], s[22:23], s[20:21]
	s_and_b64 exec, exec, s[20:21]
	s_cbranch_execz .LBB2_152
; %bb.144:
	v_cmp_ngt_f64_e64 s[20:21], 0, v[100:101]
	v_cmp_ngt_f64_e64 s[22:23], 0, v[118:119]
	s_or_b64 s[22:23], s[20:21], s[22:23]
	v_cmp_ngt_f64_e64 s[20:21], 0, v[52:53]
	s_or_b64 s[20:21], s[22:23], s[20:21]
	s_and_b64 exec, exec, s[20:21]
	s_cbranch_execz .LBB2_152
; %bb.145:
	v_cmp_nle_f64_e64 s[20:21], 1.0, v[100:101]
	v_cmp_nle_f64_e64 s[22:23], 1.0, v[118:119]
	s_or_b64 s[22:23], s[20:21], s[22:23]
	v_cmp_nle_f64_e64 s[20:21], 1.0, v[52:53]
	s_or_b64 s[20:21], s[22:23], s[20:21]
	s_and_b64 exec, exec, s[20:21]
	s_cbranch_execz .LBB2_152
; %bb.146:
	v_cmp_ngt_f64_e64 s[20:21], 0, v[98:99]
	v_cmp_ngt_f64_e64 s[22:23], 0, v[116:117]
	s_or_b64 s[22:23], s[20:21], s[22:23]
	v_cmp_ngt_f64_e64 s[20:21], 0, v[50:51]
	s_or_b64 s[20:21], s[22:23], s[20:21]
	s_and_b64 exec, exec, s[20:21]
	s_cbranch_execz .LBB2_152
; %bb.147:
	v_cmp_le_f64_e64 s[20:21], 0, v[102:103]
	v_cmp_le_f64_e64 s[22:23], 0, v[120:121]
	s_and_b64 s[22:23], s[20:21], s[22:23]
	v_cmp_le_f64_e64 s[20:21], 0, v[54:55]
	s_and_b64 s[22:23], s[22:23], s[20:21]
	v_cmp_gt_f64_e64 s[20:21], 1.0, v[102:103]
	s_and_b64 s[22:23], s[20:21], s[22:23]
	v_cmp_gt_f64_e64 s[20:21], 1.0, v[120:121]
	;; [unrolled: 2-line block ×3, first 2 shown]
	s_and_b64 s[22:23], s[22:23], s[20:21]
	v_cmp_le_f64_e64 s[20:21], 0, v[100:101]
	s_and_b64 s[22:23], s[20:21], s[22:23]
	v_cmp_le_f64_e64 s[20:21], 0, v[118:119]
	;; [unrolled: 2-line block ×3, first 2 shown]
	s_and_b64 s[22:23], s[22:23], s[20:21]
	v_cmp_gt_f64_e64 s[20:21], 1.0, v[100:101]
	s_and_b64 s[22:23], s[20:21], s[22:23]
	v_cmp_gt_f64_e64 s[20:21], 1.0, v[118:119]
	s_and_b64 s[22:23], s[22:23], s[20:21]
	v_cmp_gt_f64_e64 s[20:21], 1.0, v[52:53]
	s_and_b64 s[20:21], s[22:23], s[20:21]
	v_mov_b32_e32 v122, 8
	s_and_saveexec_b64 s[26:27], s[20:21]
	s_cbranch_execz .LBB2_151
; %bb.148:
	v_cmp_nge_f64_e64 s[20:21], v[98:99], v[34:35]
	v_cmp_nge_f64_e64 s[22:23], v[116:117], v[34:35]
	s_or_b64 s[22:23], s[20:21], s[22:23]
	v_cmp_nge_f64_e64 s[20:21], v[50:51], v[34:35]
	s_or_b64 s[20:21], s[22:23], s[20:21]
	v_mov_b32_e32 v122, 4
	s_and_saveexec_b64 s[28:29], s[20:21]
	s_cbranch_execz .LBB2_150
; %bb.149:
	v_cmp_le_f64_e64 s[20:21], 0, v[98:99]
	v_cmp_le_f64_e64 s[22:23], 0, v[116:117]
	s_and_b64 s[22:23], s[20:21], s[22:23]
	v_cmp_le_f64_e64 s[20:21], 0, v[50:51]
	s_and_b64 s[22:23], s[22:23], s[20:21]
	v_cmp_lt_f64_e64 s[20:21], v[98:99], v[34:35]
	s_and_b64 s[22:23], s[20:21], s[22:23]
	v_cmp_lt_f64_e64 s[20:21], v[116:117], v[34:35]
	;; [unrolled: 2-line block ×3, first 2 shown]
	v_mov_b32_e32 v122, 0
	v_mov_b32_e32 v123, 8
	s_and_b64 s[20:21], s[22:23], s[20:21]
	v_cndmask_b32_e64 v122, v123, v122, s[20:21]
.LBB2_150:
	s_or_b64 exec, exec, s[28:29]
.LBB2_151:
	s_or_b64 exec, exec, s[26:27]
	buffer_load_dword v123, v122, s[0:3], 0 offen
	s_waitcnt vmcnt(0)
	v_or_b32_e32 v123, 0x4000, v123
	buffer_store_dword v123, v122, s[0:3], 0 offen
.LBB2_152:
	s_or_b64 exec, exec, s[24:25]
	s_and_b64 s[18:19], s[4:5], s[18:19]
	s_and_b64 s[18:19], s[18:19], s[8:9]
	s_xor_b64 s[18:19], s[18:19], -1
	s_and_saveexec_b64 s[22:23], s[18:19]
	s_cbranch_execz .LBB2_162
; %bb.153:
	v_cmp_nle_f64_e64 s[18:19], 1.0, v[54:55]
	v_cmp_nle_f64_e64 s[20:21], 1.0, v[120:121]
	s_or_b64 s[20:21], s[18:19], s[20:21]
	v_cmp_nle_f64_e64 s[18:19], 1.0, v[68:69]
	s_or_b64 s[18:19], s[20:21], s[18:19]
	s_and_b64 exec, exec, s[18:19]
	s_cbranch_execz .LBB2_162
; %bb.154:
	v_cmp_ngt_f64_e64 s[18:19], 0, v[52:53]
	v_cmp_ngt_f64_e64 s[20:21], 0, v[118:119]
	s_or_b64 s[20:21], s[18:19], s[20:21]
	v_cmp_ngt_f64_e64 s[18:19], 0, v[64:65]
	s_or_b64 s[18:19], s[20:21], s[18:19]
	s_and_b64 exec, exec, s[18:19]
	s_cbranch_execz .LBB2_162
; %bb.155:
	v_cmp_nle_f64_e64 s[18:19], 1.0, v[52:53]
	v_cmp_nle_f64_e64 s[20:21], 1.0, v[118:119]
	s_or_b64 s[20:21], s[18:19], s[20:21]
	v_cmp_nle_f64_e64 s[18:19], 1.0, v[64:65]
	s_or_b64 s[18:19], s[20:21], s[18:19]
	s_and_b64 exec, exec, s[18:19]
	s_cbranch_execz .LBB2_162
; %bb.156:
	v_cmp_ngt_f64_e64 s[18:19], 0, v[50:51]
	v_cmp_ngt_f64_e64 s[20:21], 0, v[116:117]
	s_or_b64 s[20:21], s[18:19], s[20:21]
	v_cmp_ngt_f64_e64 s[18:19], 0, v[58:59]
	s_or_b64 s[18:19], s[20:21], s[18:19]
	s_and_b64 exec, exec, s[18:19]
	s_cbranch_execz .LBB2_162
; %bb.157:
	v_cmp_le_f64_e64 s[18:19], 0, v[54:55]
	v_cmp_le_f64_e64 s[20:21], 0, v[120:121]
	s_and_b64 s[20:21], s[18:19], s[20:21]
	v_cmp_le_f64_e64 s[18:19], 0, v[68:69]
	s_and_b64 s[20:21], s[20:21], s[18:19]
	v_cmp_gt_f64_e64 s[18:19], 1.0, v[54:55]
	s_and_b64 s[20:21], s[18:19], s[20:21]
	v_cmp_gt_f64_e64 s[18:19], 1.0, v[120:121]
	;; [unrolled: 2-line block ×3, first 2 shown]
	s_and_b64 s[20:21], s[20:21], s[18:19]
	v_cmp_le_f64_e64 s[18:19], 0, v[52:53]
	s_and_b64 s[20:21], s[18:19], s[20:21]
	v_cmp_le_f64_e64 s[18:19], 0, v[118:119]
	;; [unrolled: 2-line block ×3, first 2 shown]
	s_and_b64 s[20:21], s[20:21], s[18:19]
	v_cmp_gt_f64_e64 s[18:19], 1.0, v[52:53]
	s_and_b64 s[20:21], s[18:19], s[20:21]
	v_cmp_gt_f64_e64 s[18:19], 1.0, v[118:119]
	;; [unrolled: 2-line block ×3, first 2 shown]
	s_and_b64 s[18:19], s[20:21], s[18:19]
	v_mov_b32_e32 v118, 8
	s_and_saveexec_b64 s[24:25], s[18:19]
	s_cbranch_execz .LBB2_161
; %bb.158:
	v_cmp_nge_f64_e64 s[18:19], v[50:51], v[34:35]
	v_cmp_nge_f64_e64 s[20:21], v[116:117], v[34:35]
	s_or_b64 s[20:21], s[18:19], s[20:21]
	v_cmp_nge_f64_e64 s[18:19], v[58:59], v[34:35]
	s_or_b64 s[18:19], s[20:21], s[18:19]
	v_mov_b32_e32 v118, 4
	s_and_saveexec_b64 s[26:27], s[18:19]
	s_cbranch_execz .LBB2_160
; %bb.159:
	v_cmp_le_f64_e64 s[18:19], 0, v[50:51]
	v_cmp_le_f64_e64 s[20:21], 0, v[116:117]
	s_and_b64 s[20:21], s[18:19], s[20:21]
	v_cmp_le_f64_e64 s[18:19], 0, v[58:59]
	s_and_b64 s[20:21], s[20:21], s[18:19]
	v_cmp_lt_f64_e64 s[18:19], v[50:51], v[34:35]
	s_and_b64 s[20:21], s[18:19], s[20:21]
	v_cmp_lt_f64_e64 s[18:19], v[116:117], v[34:35]
	;; [unrolled: 2-line block ×3, first 2 shown]
	v_mov_b32_e32 v116, 0
	v_mov_b32_e32 v117, 8
	s_and_b64 s[18:19], s[20:21], s[18:19]
	v_cndmask_b32_e64 v118, v117, v116, s[18:19]
.LBB2_160:
	s_or_b64 exec, exec, s[26:27]
.LBB2_161:
	s_or_b64 exec, exec, s[24:25]
	buffer_load_dword v116, v118, s[0:3], 0 offen
	s_waitcnt vmcnt(0)
	v_or_b32_e32 v116, 0x8000, v116
	buffer_store_dword v116, v118, s[0:3], 0 offen
.LBB2_162:
	s_or_b64 exec, exec, s[22:23]
	v_add_f64 v[80:81], v[80:81], v[86:87]
	v_add_f64 v[80:81], v[80:81], v[96:97]
	s_mov_b32 s18, 0
	v_add_f64 v[80:81], v[88:89], v[80:81]
	s_mov_b32 s19, 0x3fd00000
	v_add_f64 v[76:77], v[76:77], v[82:83]
	v_add_f64 v[74:75], v[74:75], v[78:79]
	v_fma_f64 v[80:81], v[80:81], s[18:19], -v[0:1]
	v_add_f64 v[76:77], v[76:77], v[92:93]
	v_add_f64 v[74:75], v[74:75], v[94:95]
	v_mul_f64 v[80:81], v[80:81], v[32:33]
	v_add_f64 v[76:77], v[90:91], v[76:77]
	v_add_f64 v[74:75], v[84:85], v[74:75]
	v_fma_f64 v[76:77], v[76:77], s[18:19], -v[8:9]
	v_fma_f64 v[74:75], v[74:75], s[18:19], -v[4:5]
	v_cmp_gt_f64_e64 s[18:19], 0, v[80:81]
	s_and_b64 s[20:21], s[6:7], s[18:19]
	s_and_b64 s[20:21], s[14:15], s[20:21]
	v_mul_f64 v[76:77], v[76:77], v[6:7]
	s_xor_b64 s[20:21], s[20:21], -1
	s_and_saveexec_b64 s[24:25], s[20:21]
	s_cbranch_execz .LBB2_172
; %bb.163:
	v_cmp_nle_f64_e64 s[20:21], 1.0, v[66:67]
	v_cmp_nle_f64_e64 s[22:23], 1.0, v[80:81]
	s_or_b64 s[22:23], s[20:21], s[22:23]
	v_cmp_nle_f64_e64 s[20:21], 1.0, v[108:109]
	s_or_b64 s[20:21], s[20:21], s[22:23]
	s_and_b64 exec, exec, s[20:21]
	s_cbranch_execz .LBB2_172
; %bb.164:
	v_cmp_ngt_f64_e64 s[20:21], 0, v[60:61]
	v_cmp_ngt_f64_e64 s[22:23], 0, v[76:77]
	s_or_b64 s[22:23], s[20:21], s[22:23]
	v_cmp_ngt_f64_e64 s[20:21], 0, v[106:107]
	s_or_b64 s[20:21], s[22:23], s[20:21]
	s_and_b64 exec, exec, s[20:21]
	s_cbranch_execz .LBB2_172
; %bb.165:
	v_cmp_nle_f64_e64 s[20:21], 1.0, v[60:61]
	v_cmp_nle_f64_e64 s[22:23], 1.0, v[76:77]
	s_or_b64 s[22:23], s[20:21], s[22:23]
	v_cmp_nle_f64_e64 s[20:21], 1.0, v[106:107]
	s_or_b64 s[20:21], s[22:23], s[20:21]
	s_and_b64 exec, exec, s[20:21]
	s_cbranch_execz .LBB2_172
; %bb.166:
	v_cmp_ngt_f64_e64 s[20:21], 0, v[56:57]
	v_cmp_ngt_f64_e64 s[22:23], 0, v[74:75]
	s_or_b64 s[22:23], s[20:21], s[22:23]
	v_cmp_ngt_f64_e64 s[20:21], 0, v[104:105]
	s_or_b64 s[20:21], s[22:23], s[20:21]
	s_and_b64 exec, exec, s[20:21]
	s_cbranch_execz .LBB2_172
; %bb.167:
	v_cmp_le_f64_e64 s[20:21], 0, v[66:67]
	v_cmp_le_f64_e64 s[22:23], 0, v[80:81]
	s_and_b64 s[22:23], s[20:21], s[22:23]
	v_cmp_le_f64_e64 s[20:21], 0, v[108:109]
	s_and_b64 s[22:23], s[20:21], s[22:23]
	v_cmp_gt_f64_e64 s[20:21], 1.0, v[66:67]
	s_and_b64 s[22:23], s[20:21], s[22:23]
	v_cmp_gt_f64_e64 s[20:21], 1.0, v[80:81]
	;; [unrolled: 2-line block ×3, first 2 shown]
	s_and_b64 s[22:23], s[20:21], s[22:23]
	v_cmp_le_f64_e64 s[20:21], 0, v[60:61]
	s_and_b64 s[22:23], s[20:21], s[22:23]
	v_cmp_le_f64_e64 s[20:21], 0, v[76:77]
	;; [unrolled: 2-line block ×3, first 2 shown]
	s_and_b64 s[22:23], s[22:23], s[20:21]
	v_cmp_gt_f64_e64 s[20:21], 1.0, v[60:61]
	s_and_b64 s[22:23], s[20:21], s[22:23]
	v_cmp_gt_f64_e64 s[20:21], 1.0, v[76:77]
	;; [unrolled: 2-line block ×3, first 2 shown]
	s_and_b64 s[20:21], s[22:23], s[20:21]
	v_mov_b32_e32 v78, 8
	s_and_saveexec_b64 s[26:27], s[20:21]
	s_cbranch_execz .LBB2_171
; %bb.168:
	v_cmp_nge_f64_e64 s[20:21], v[56:57], v[34:35]
	v_cmp_nge_f64_e64 s[22:23], v[74:75], v[34:35]
	s_or_b64 s[22:23], s[20:21], s[22:23]
	v_cmp_nge_f64_e64 s[20:21], v[104:105], v[34:35]
	s_or_b64 s[20:21], s[22:23], s[20:21]
	v_mov_b32_e32 v78, 4
	s_and_saveexec_b64 s[28:29], s[20:21]
	s_cbranch_execz .LBB2_170
; %bb.169:
	v_cmp_le_f64_e64 s[20:21], 0, v[56:57]
	v_cmp_le_f64_e64 s[22:23], 0, v[74:75]
	s_and_b64 s[22:23], s[20:21], s[22:23]
	v_cmp_le_f64_e64 s[20:21], 0, v[104:105]
	s_and_b64 s[22:23], s[22:23], s[20:21]
	v_cmp_lt_f64_e64 s[20:21], v[56:57], v[34:35]
	s_and_b64 s[22:23], s[20:21], s[22:23]
	v_cmp_lt_f64_e64 s[20:21], v[74:75], v[34:35]
	;; [unrolled: 2-line block ×3, first 2 shown]
	v_mov_b32_e32 v78, 0
	v_mov_b32_e32 v79, 8
	s_and_b64 s[20:21], s[22:23], s[20:21]
	v_cndmask_b32_e64 v78, v79, v78, s[20:21]
.LBB2_170:
	s_or_b64 exec, exec, s[28:29]
.LBB2_171:
	s_or_b64 exec, exec, s[26:27]
	buffer_load_dword v79, v78, s[0:3], 0 offen
	s_waitcnt vmcnt(0)
	v_or_b32_e32 v79, 0x10000, v79
	buffer_store_dword v79, v78, s[0:3], 0 offen
.LBB2_172:
	s_or_b64 exec, exec, s[24:25]
	s_and_b64 s[14:15], s[14:15], s[18:19]
	s_and_b64 s[14:15], s[14:15], s[16:17]
	s_xor_b64 s[14:15], s[14:15], -1
	s_and_saveexec_b64 s[22:23], s[14:15]
	s_cbranch_execz .LBB2_182
; %bb.173:
	v_cmp_nle_f64_e64 s[14:15], 1.0, v[108:109]
	v_cmp_nle_f64_e64 s[20:21], 1.0, v[80:81]
	s_or_b64 s[20:21], s[14:15], s[20:21]
	v_cmp_nle_f64_e64 s[14:15], 1.0, v[114:115]
	s_or_b64 s[14:15], s[20:21], s[14:15]
	s_and_b64 exec, exec, s[14:15]
	s_cbranch_execz .LBB2_182
; %bb.174:
	v_cmp_ngt_f64_e64 s[14:15], 0, v[106:107]
	v_cmp_ngt_f64_e64 s[20:21], 0, v[76:77]
	s_or_b64 s[20:21], s[14:15], s[20:21]
	v_cmp_ngt_f64_e64 s[14:15], 0, v[112:113]
	s_or_b64 s[14:15], s[20:21], s[14:15]
	s_and_b64 exec, exec, s[14:15]
	s_cbranch_execz .LBB2_182
; %bb.175:
	v_cmp_nle_f64_e64 s[14:15], 1.0, v[106:107]
	v_cmp_nle_f64_e64 s[20:21], 1.0, v[76:77]
	s_or_b64 s[20:21], s[14:15], s[20:21]
	v_cmp_nle_f64_e64 s[14:15], 1.0, v[112:113]
	s_or_b64 s[14:15], s[20:21], s[14:15]
	s_and_b64 exec, exec, s[14:15]
	s_cbranch_execz .LBB2_182
; %bb.176:
	v_cmp_ngt_f64_e64 s[14:15], 0, v[104:105]
	v_cmp_ngt_f64_e64 s[20:21], 0, v[74:75]
	s_or_b64 s[20:21], s[14:15], s[20:21]
	v_cmp_ngt_f64_e64 s[14:15], 0, v[110:111]
	s_or_b64 s[14:15], s[20:21], s[14:15]
	s_and_b64 exec, exec, s[14:15]
	s_cbranch_execz .LBB2_182
; %bb.177:
	v_cmp_le_f64_e64 s[14:15], 0, v[108:109]
	v_cmp_le_f64_e64 s[20:21], 0, v[80:81]
	s_and_b64 s[20:21], s[14:15], s[20:21]
	v_cmp_le_f64_e64 s[14:15], 0, v[114:115]
	s_and_b64 s[20:21], s[20:21], s[14:15]
	v_cmp_gt_f64_e64 s[14:15], 1.0, v[108:109]
	s_and_b64 s[20:21], s[14:15], s[20:21]
	v_cmp_gt_f64_e64 s[14:15], 1.0, v[80:81]
	;; [unrolled: 2-line block ×3, first 2 shown]
	s_and_b64 s[20:21], s[20:21], s[14:15]
	v_cmp_le_f64_e64 s[14:15], 0, v[106:107]
	s_and_b64 s[20:21], s[14:15], s[20:21]
	v_cmp_le_f64_e64 s[14:15], 0, v[76:77]
	;; [unrolled: 2-line block ×3, first 2 shown]
	s_and_b64 s[20:21], s[20:21], s[14:15]
	v_cmp_gt_f64_e64 s[14:15], 1.0, v[106:107]
	s_and_b64 s[20:21], s[14:15], s[20:21]
	v_cmp_gt_f64_e64 s[14:15], 1.0, v[76:77]
	;; [unrolled: 2-line block ×3, first 2 shown]
	s_and_b64 s[14:15], s[20:21], s[14:15]
	v_mov_b32_e32 v78, 8
	s_and_saveexec_b64 s[24:25], s[14:15]
	s_cbranch_execz .LBB2_181
; %bb.178:
	v_cmp_nge_f64_e64 s[14:15], v[104:105], v[34:35]
	v_cmp_nge_f64_e64 s[20:21], v[74:75], v[34:35]
	s_or_b64 s[20:21], s[14:15], s[20:21]
	v_cmp_nge_f64_e64 s[14:15], v[110:111], v[34:35]
	s_or_b64 s[14:15], s[20:21], s[14:15]
	v_mov_b32_e32 v78, 4
	s_and_saveexec_b64 s[26:27], s[14:15]
	s_cbranch_execz .LBB2_180
; %bb.179:
	v_cmp_le_f64_e64 s[14:15], 0, v[104:105]
	v_cmp_le_f64_e64 s[20:21], 0, v[74:75]
	s_and_b64 s[20:21], s[14:15], s[20:21]
	v_cmp_le_f64_e64 s[14:15], 0, v[110:111]
	s_and_b64 s[20:21], s[20:21], s[14:15]
	v_cmp_lt_f64_e64 s[14:15], v[104:105], v[34:35]
	s_and_b64 s[20:21], s[14:15], s[20:21]
	v_cmp_lt_f64_e64 s[14:15], v[74:75], v[34:35]
	;; [unrolled: 2-line block ×3, first 2 shown]
	v_mov_b32_e32 v78, 0
	v_mov_b32_e32 v79, 8
	s_and_b64 s[14:15], s[20:21], s[14:15]
	v_cndmask_b32_e64 v78, v79, v78, s[14:15]
.LBB2_180:
	s_or_b64 exec, exec, s[26:27]
.LBB2_181:
	s_or_b64 exec, exec, s[24:25]
	buffer_load_dword v79, v78, s[0:3], 0 offen
	s_waitcnt vmcnt(0)
	v_or_b32_e32 v79, 0x20000, v79
	buffer_store_dword v79, v78, s[0:3], 0 offen
.LBB2_182:
	s_or_b64 exec, exec, s[22:23]
	s_and_b64 s[14:15], s[16:17], s[18:19]
	s_and_b64 s[14:15], s[14:15], s[8:9]
	s_xor_b64 s[14:15], s[14:15], -1
	s_and_saveexec_b64 s[20:21], s[14:15]
	s_cbranch_execz .LBB2_192
; %bb.183:
	v_cmp_nle_f64_e64 s[14:15], 1.0, v[114:115]
	v_cmp_nle_f64_e64 s[16:17], 1.0, v[80:81]
	s_or_b64 s[16:17], s[14:15], s[16:17]
	v_cmp_nle_f64_e64 s[14:15], 1.0, v[68:69]
	s_or_b64 s[14:15], s[16:17], s[14:15]
	s_and_b64 exec, exec, s[14:15]
	s_cbranch_execz .LBB2_192
; %bb.184:
	v_cmp_ngt_f64_e64 s[14:15], 0, v[112:113]
	v_cmp_ngt_f64_e64 s[16:17], 0, v[76:77]
	s_or_b64 s[16:17], s[14:15], s[16:17]
	v_cmp_ngt_f64_e64 s[14:15], 0, v[64:65]
	s_or_b64 s[14:15], s[16:17], s[14:15]
	s_and_b64 exec, exec, s[14:15]
	s_cbranch_execz .LBB2_192
; %bb.185:
	v_cmp_nle_f64_e64 s[14:15], 1.0, v[112:113]
	v_cmp_nle_f64_e64 s[16:17], 1.0, v[76:77]
	s_or_b64 s[16:17], s[14:15], s[16:17]
	v_cmp_nle_f64_e64 s[14:15], 1.0, v[64:65]
	s_or_b64 s[14:15], s[16:17], s[14:15]
	s_and_b64 exec, exec, s[14:15]
	s_cbranch_execz .LBB2_192
; %bb.186:
	v_cmp_ngt_f64_e64 s[14:15], 0, v[110:111]
	v_cmp_ngt_f64_e64 s[16:17], 0, v[74:75]
	s_or_b64 s[16:17], s[14:15], s[16:17]
	v_cmp_ngt_f64_e64 s[14:15], 0, v[58:59]
	s_or_b64 s[14:15], s[16:17], s[14:15]
	s_and_b64 exec, exec, s[14:15]
	s_cbranch_execz .LBB2_192
; %bb.187:
	v_cmp_le_f64_e64 s[14:15], 0, v[114:115]
	v_cmp_le_f64_e64 s[16:17], 0, v[80:81]
	s_and_b64 s[16:17], s[14:15], s[16:17]
	v_cmp_le_f64_e64 s[14:15], 0, v[68:69]
	s_and_b64 s[16:17], s[16:17], s[14:15]
	v_cmp_gt_f64_e64 s[14:15], 1.0, v[114:115]
	s_and_b64 s[16:17], s[14:15], s[16:17]
	v_cmp_gt_f64_e64 s[14:15], 1.0, v[80:81]
	;; [unrolled: 2-line block ×3, first 2 shown]
	s_and_b64 s[16:17], s[16:17], s[14:15]
	v_cmp_le_f64_e64 s[14:15], 0, v[112:113]
	s_and_b64 s[16:17], s[14:15], s[16:17]
	v_cmp_le_f64_e64 s[14:15], 0, v[76:77]
	;; [unrolled: 2-line block ×3, first 2 shown]
	s_and_b64 s[16:17], s[16:17], s[14:15]
	v_cmp_gt_f64_e64 s[14:15], 1.0, v[112:113]
	s_and_b64 s[16:17], s[14:15], s[16:17]
	v_cmp_gt_f64_e64 s[14:15], 1.0, v[76:77]
	s_and_b64 s[16:17], s[16:17], s[14:15]
	v_cmp_gt_f64_e64 s[14:15], 1.0, v[64:65]
	s_and_b64 s[14:15], s[16:17], s[14:15]
	v_mov_b32_e32 v78, 8
	s_and_saveexec_b64 s[22:23], s[14:15]
	s_cbranch_execz .LBB2_191
; %bb.188:
	v_cmp_nge_f64_e64 s[14:15], v[110:111], v[34:35]
	v_cmp_nge_f64_e64 s[16:17], v[74:75], v[34:35]
	s_or_b64 s[16:17], s[14:15], s[16:17]
	v_cmp_nge_f64_e64 s[14:15], v[58:59], v[34:35]
	s_or_b64 s[14:15], s[16:17], s[14:15]
	v_mov_b32_e32 v78, 4
	s_and_saveexec_b64 s[24:25], s[14:15]
	s_cbranch_execz .LBB2_190
; %bb.189:
	v_cmp_le_f64_e64 s[14:15], 0, v[110:111]
	v_cmp_le_f64_e64 s[16:17], 0, v[74:75]
	s_and_b64 s[16:17], s[14:15], s[16:17]
	v_cmp_le_f64_e64 s[14:15], 0, v[58:59]
	s_and_b64 s[16:17], s[16:17], s[14:15]
	v_cmp_lt_f64_e64 s[14:15], v[110:111], v[34:35]
	s_and_b64 s[16:17], s[14:15], s[16:17]
	v_cmp_lt_f64_e64 s[14:15], v[74:75], v[34:35]
	;; [unrolled: 2-line block ×3, first 2 shown]
	v_mov_b32_e32 v78, 0
	v_mov_b32_e32 v79, 8
	s_and_b64 s[14:15], s[16:17], s[14:15]
	v_cndmask_b32_e64 v78, v79, v78, s[14:15]
.LBB2_190:
	s_or_b64 exec, exec, s[24:25]
.LBB2_191:
	s_or_b64 exec, exec, s[22:23]
	buffer_load_dword v79, v78, s[0:3], 0 offen
	s_waitcnt vmcnt(0)
	v_or_b32_e32 v79, 0x40000, v79
	buffer_store_dword v79, v78, s[0:3], 0 offen
.LBB2_192:
	s_or_b64 exec, exec, s[20:21]
	s_and_b64 s[8:9], s[8:9], s[18:19]
	s_and_b64 s[6:7], s[6:7], s[8:9]
	s_xor_b64 s[6:7], s[6:7], -1
	s_and_saveexec_b64 s[14:15], s[6:7]
	s_cbranch_execz .LBB2_202
; %bb.193:
	v_cmp_nle_f64_e64 s[6:7], 1.0, v[68:69]
	v_cmp_nle_f64_e64 s[8:9], 1.0, v[80:81]
	s_or_b64 s[8:9], s[6:7], s[8:9]
	v_cmp_nle_f64_e64 s[6:7], 1.0, v[66:67]
	s_or_b64 s[6:7], s[6:7], s[8:9]
	s_and_b64 exec, exec, s[6:7]
	s_cbranch_execz .LBB2_202
; %bb.194:
	v_cmp_ngt_f64_e64 s[6:7], 0, v[64:65]
	v_cmp_ngt_f64_e64 s[8:9], 0, v[76:77]
	s_or_b64 s[8:9], s[6:7], s[8:9]
	v_cmp_ngt_f64_e64 s[6:7], 0, v[60:61]
	s_or_b64 s[6:7], s[8:9], s[6:7]
	s_and_b64 exec, exec, s[6:7]
	s_cbranch_execz .LBB2_202
; %bb.195:
	v_cmp_nle_f64_e64 s[6:7], 1.0, v[64:65]
	v_cmp_nle_f64_e64 s[8:9], 1.0, v[76:77]
	s_or_b64 s[8:9], s[6:7], s[8:9]
	v_cmp_nle_f64_e64 s[6:7], 1.0, v[60:61]
	s_or_b64 s[6:7], s[8:9], s[6:7]
	s_and_b64 exec, exec, s[6:7]
	s_cbranch_execz .LBB2_202
; %bb.196:
	v_cmp_ngt_f64_e64 s[6:7], 0, v[58:59]
	v_cmp_ngt_f64_e64 s[8:9], 0, v[74:75]
	s_or_b64 s[8:9], s[6:7], s[8:9]
	v_cmp_ngt_f64_e64 s[6:7], 0, v[56:57]
	s_or_b64 s[6:7], s[8:9], s[6:7]
	s_and_b64 exec, exec, s[6:7]
	s_cbranch_execz .LBB2_202
; %bb.197:
	v_cmp_le_f64_e64 s[6:7], 0, v[68:69]
	v_cmp_le_f64_e64 s[8:9], 0, v[80:81]
	s_and_b64 s[8:9], s[6:7], s[8:9]
	v_cmp_le_f64_e64 s[6:7], 0, v[66:67]
	s_and_b64 s[8:9], s[6:7], s[8:9]
	v_cmp_gt_f64_e64 s[6:7], 1.0, v[68:69]
	s_and_b64 s[8:9], s[6:7], s[8:9]
	v_cmp_gt_f64_e64 s[6:7], 1.0, v[80:81]
	;; [unrolled: 2-line block ×3, first 2 shown]
	s_and_b64 s[8:9], s[6:7], s[8:9]
	v_cmp_le_f64_e64 s[6:7], 0, v[64:65]
	s_and_b64 s[8:9], s[6:7], s[8:9]
	v_cmp_le_f64_e64 s[6:7], 0, v[76:77]
	;; [unrolled: 2-line block ×3, first 2 shown]
	s_and_b64 s[8:9], s[8:9], s[6:7]
	v_cmp_gt_f64_e64 s[6:7], 1.0, v[64:65]
	s_and_b64 s[8:9], s[6:7], s[8:9]
	v_cmp_gt_f64_e64 s[6:7], 1.0, v[76:77]
	;; [unrolled: 2-line block ×3, first 2 shown]
	s_and_b64 s[6:7], s[8:9], s[6:7]
	v_mov_b32_e32 v60, 8
	s_and_saveexec_b64 s[16:17], s[6:7]
	s_cbranch_execz .LBB2_201
; %bb.198:
	v_cmp_nge_f64_e64 s[6:7], v[58:59], v[34:35]
	v_cmp_nge_f64_e64 s[8:9], v[74:75], v[34:35]
	s_or_b64 s[8:9], s[6:7], s[8:9]
	v_cmp_nge_f64_e64 s[6:7], v[56:57], v[34:35]
	s_or_b64 s[6:7], s[8:9], s[6:7]
	v_mov_b32_e32 v60, 4
	s_and_saveexec_b64 s[18:19], s[6:7]
	s_cbranch_execz .LBB2_200
; %bb.199:
	v_cmp_le_f64_e64 s[6:7], 0, v[58:59]
	v_cmp_le_f64_e64 s[8:9], 0, v[74:75]
	s_and_b64 s[8:9], s[6:7], s[8:9]
	v_cmp_le_f64_e64 s[6:7], 0, v[56:57]
	s_and_b64 s[8:9], s[8:9], s[6:7]
	v_cmp_lt_f64_e64 s[6:7], v[58:59], v[34:35]
	s_and_b64 s[8:9], s[6:7], s[8:9]
	v_cmp_lt_f64_e64 s[6:7], v[74:75], v[34:35]
	;; [unrolled: 2-line block ×3, first 2 shown]
	v_mov_b32_e32 v56, 0
	v_mov_b32_e32 v57, 8
	s_and_b64 s[6:7], s[8:9], s[6:7]
	v_cndmask_b32_e64 v60, v57, v56, s[6:7]
.LBB2_200:
	s_or_b64 exec, exec, s[18:19]
.LBB2_201:
	s_or_b64 exec, exec, s[16:17]
	buffer_load_dword v56, v60, s[0:3], 0 offen
	s_waitcnt vmcnt(0)
	v_or_b32_e32 v56, 0x80000, v56
	buffer_store_dword v56, v60, s[0:3], 0 offen
.LBB2_202:
	s_or_b64 exec, exec, s[14:15]
	v_add_f64 v[20:21], v[20:21], v[28:29]
	v_add_f64 v[20:21], v[20:21], v[42:43]
	s_mov_b32 s6, 0
	v_add_f64 v[20:21], v[24:25], v[20:21]
	s_mov_b32 s7, 0x3fd00000
	v_add_f64 v[16:17], v[16:17], v[36:37]
	v_add_f64 v[12:13], v[12:13], v[26:27]
	v_fma_f64 v[20:21], v[20:21], s[6:7], -v[0:1]
	v_add_f64 v[16:17], v[16:17], v[38:39]
	v_add_f64 v[12:13], v[12:13], v[40:41]
	v_mul_f64 v[20:21], v[20:21], v[32:33]
	v_add_f64 v[16:17], v[22:23], v[16:17]
	v_add_f64 v[12:13], v[18:19], v[12:13]
	v_fma_f64 v[16:17], v[16:17], s[6:7], -v[8:9]
	v_fma_f64 v[12:13], v[12:13], s[6:7], -v[4:5]
	v_cmp_gt_f64_e64 s[6:7], 0, v[20:21]
	s_and_b64 s[8:9], vcc, s[6:7]
	s_and_b64 s[8:9], s[8:9], s[4:5]
	v_mul_f64 v[16:17], v[16:17], v[6:7]
	s_xor_b64 s[8:9], s[8:9], -1
	s_and_saveexec_b64 s[16:17], s[8:9]
	s_cbranch_execz .LBB2_212
; %bb.203:
	v_cmp_nle_f64_e64 s[8:9], 1.0, v[48:49]
	v_cmp_nle_f64_e64 s[14:15], 1.0, v[20:21]
	s_or_b64 s[14:15], s[8:9], s[14:15]
	v_cmp_nle_f64_e64 s[8:9], 1.0, v[54:55]
	s_or_b64 s[8:9], s[14:15], s[8:9]
	s_and_b64 exec, exec, s[8:9]
	s_cbranch_execz .LBB2_212
; %bb.204:
	v_cmp_ngt_f64_e64 s[8:9], 0, v[46:47]
	v_cmp_ngt_f64_e64 s[14:15], 0, v[16:17]
	s_or_b64 s[14:15], s[8:9], s[14:15]
	v_cmp_ngt_f64_e64 s[8:9], 0, v[52:53]
	s_or_b64 s[8:9], s[14:15], s[8:9]
	s_and_b64 exec, exec, s[8:9]
	s_cbranch_execz .LBB2_212
; %bb.205:
	v_cmp_nle_f64_e64 s[8:9], 1.0, v[46:47]
	v_cmp_nle_f64_e64 s[14:15], 1.0, v[16:17]
	s_or_b64 s[14:15], s[8:9], s[14:15]
	v_cmp_nle_f64_e64 s[8:9], 1.0, v[52:53]
	s_or_b64 s[8:9], s[14:15], s[8:9]
	s_and_b64 exec, exec, s[8:9]
	s_cbranch_execz .LBB2_212
; %bb.206:
	v_cmp_ngt_f64_e64 s[8:9], 0, v[44:45]
	v_cmp_ngt_f64_e64 s[14:15], 0, v[12:13]
	s_or_b64 s[14:15], s[8:9], s[14:15]
	v_cmp_ngt_f64_e64 s[8:9], 0, v[50:51]
	s_or_b64 s[8:9], s[14:15], s[8:9]
	s_and_b64 exec, exec, s[8:9]
	s_cbranch_execz .LBB2_212
; %bb.207:
	v_cmp_le_f64_e64 s[8:9], 0, v[48:49]
	v_cmp_le_f64_e64 s[14:15], 0, v[20:21]
	s_and_b64 s[14:15], s[8:9], s[14:15]
	v_cmp_le_f64_e64 s[8:9], 0, v[54:55]
	s_and_b64 s[14:15], s[14:15], s[8:9]
	v_cmp_gt_f64_e64 s[8:9], 1.0, v[48:49]
	s_and_b64 s[14:15], s[8:9], s[14:15]
	v_cmp_gt_f64_e64 s[8:9], 1.0, v[20:21]
	;; [unrolled: 2-line block ×3, first 2 shown]
	s_and_b64 s[14:15], s[14:15], s[8:9]
	v_cmp_le_f64_e64 s[8:9], 0, v[46:47]
	s_and_b64 s[14:15], s[8:9], s[14:15]
	v_cmp_le_f64_e64 s[8:9], 0, v[16:17]
	;; [unrolled: 2-line block ×3, first 2 shown]
	s_and_b64 s[14:15], s[14:15], s[8:9]
	v_cmp_gt_f64_e64 s[8:9], 1.0, v[46:47]
	s_and_b64 s[14:15], s[8:9], s[14:15]
	v_cmp_gt_f64_e64 s[8:9], 1.0, v[16:17]
	;; [unrolled: 2-line block ×3, first 2 shown]
	s_and_b64 s[8:9], s[14:15], s[8:9]
	v_mov_b32_e32 v18, 8
	s_and_saveexec_b64 s[18:19], s[8:9]
	s_cbranch_execz .LBB2_211
; %bb.208:
	v_cmp_nge_f64_e64 s[8:9], v[44:45], v[34:35]
	v_cmp_nge_f64_e64 s[14:15], v[12:13], v[34:35]
	s_or_b64 s[14:15], s[8:9], s[14:15]
	v_cmp_nge_f64_e64 s[8:9], v[50:51], v[34:35]
	s_or_b64 s[8:9], s[14:15], s[8:9]
	v_mov_b32_e32 v18, 4
	s_and_saveexec_b64 s[20:21], s[8:9]
	s_cbranch_execz .LBB2_210
; %bb.209:
	v_cmp_le_f64_e64 s[8:9], 0, v[44:45]
	v_cmp_le_f64_e64 s[14:15], 0, v[12:13]
	s_and_b64 s[14:15], s[8:9], s[14:15]
	v_cmp_le_f64_e64 s[8:9], 0, v[50:51]
	s_and_b64 s[14:15], s[14:15], s[8:9]
	v_cmp_lt_f64_e64 s[8:9], v[44:45], v[34:35]
	s_and_b64 s[14:15], s[8:9], s[14:15]
	v_cmp_lt_f64_e64 s[8:9], v[12:13], v[34:35]
	;; [unrolled: 2-line block ×3, first 2 shown]
	v_mov_b32_e32 v18, 0
	v_mov_b32_e32 v19, 8
	s_and_b64 s[8:9], s[14:15], s[8:9]
	v_cndmask_b32_e64 v18, v19, v18, s[8:9]
.LBB2_210:
	s_or_b64 exec, exec, s[20:21]
.LBB2_211:
	s_or_b64 exec, exec, s[18:19]
	buffer_load_dword v19, v18, s[0:3], 0 offen
	s_waitcnt vmcnt(0)
	v_or_b32_e32 v19, 0x100000, v19
	buffer_store_dword v19, v18, s[0:3], 0 offen
.LBB2_212:
	s_or_b64 exec, exec, s[16:17]
	s_and_b64 s[4:5], s[4:5], s[6:7]
	s_and_b64 s[4:5], s[4:5], s[12:13]
	s_xor_b64 s[4:5], s[4:5], -1
	s_and_saveexec_b64 s[14:15], s[4:5]
	s_cbranch_execz .LBB2_222
; %bb.213:
	v_cmp_nle_f64_e64 s[4:5], 1.0, v[54:55]
	v_cmp_nle_f64_e64 s[8:9], 1.0, v[20:21]
	s_or_b64 s[8:9], s[4:5], s[8:9]
	v_cmp_nle_f64_e64 s[4:5], 1.0, v[102:103]
	s_or_b64 s[4:5], s[8:9], s[4:5]
	s_and_b64 exec, exec, s[4:5]
	s_cbranch_execz .LBB2_222
; %bb.214:
	v_cmp_ngt_f64_e64 s[4:5], 0, v[52:53]
	v_cmp_ngt_f64_e64 s[8:9], 0, v[16:17]
	s_or_b64 s[8:9], s[4:5], s[8:9]
	v_cmp_ngt_f64_e64 s[4:5], 0, v[100:101]
	s_or_b64 s[4:5], s[8:9], s[4:5]
	s_and_b64 exec, exec, s[4:5]
	s_cbranch_execz .LBB2_222
; %bb.215:
	v_cmp_nle_f64_e64 s[4:5], 1.0, v[52:53]
	v_cmp_nle_f64_e64 s[8:9], 1.0, v[16:17]
	s_or_b64 s[8:9], s[4:5], s[8:9]
	v_cmp_nle_f64_e64 s[4:5], 1.0, v[100:101]
	s_or_b64 s[4:5], s[8:9], s[4:5]
	s_and_b64 exec, exec, s[4:5]
	s_cbranch_execz .LBB2_222
; %bb.216:
	v_cmp_ngt_f64_e64 s[4:5], 0, v[50:51]
	v_cmp_ngt_f64_e64 s[8:9], 0, v[12:13]
	s_or_b64 s[8:9], s[4:5], s[8:9]
	v_cmp_ngt_f64_e64 s[4:5], 0, v[98:99]
	s_or_b64 s[4:5], s[8:9], s[4:5]
	s_and_b64 exec, exec, s[4:5]
	s_cbranch_execz .LBB2_222
; %bb.217:
	v_cmp_le_f64_e64 s[4:5], 0, v[54:55]
	v_cmp_le_f64_e64 s[8:9], 0, v[20:21]
	s_and_b64 s[8:9], s[4:5], s[8:9]
	v_cmp_le_f64_e64 s[4:5], 0, v[102:103]
	s_and_b64 s[8:9], s[8:9], s[4:5]
	v_cmp_gt_f64_e64 s[4:5], 1.0, v[54:55]
	s_and_b64 s[8:9], s[4:5], s[8:9]
	v_cmp_gt_f64_e64 s[4:5], 1.0, v[20:21]
	;; [unrolled: 2-line block ×3, first 2 shown]
	s_and_b64 s[8:9], s[8:9], s[4:5]
	v_cmp_le_f64_e64 s[4:5], 0, v[52:53]
	s_and_b64 s[8:9], s[4:5], s[8:9]
	v_cmp_le_f64_e64 s[4:5], 0, v[16:17]
	;; [unrolled: 2-line block ×3, first 2 shown]
	s_and_b64 s[8:9], s[8:9], s[4:5]
	v_cmp_gt_f64_e64 s[4:5], 1.0, v[52:53]
	s_and_b64 s[8:9], s[4:5], s[8:9]
	v_cmp_gt_f64_e64 s[4:5], 1.0, v[16:17]
	;; [unrolled: 2-line block ×3, first 2 shown]
	s_and_b64 s[4:5], s[8:9], s[4:5]
	v_mov_b32_e32 v18, 8
	s_and_saveexec_b64 s[16:17], s[4:5]
	s_cbranch_execz .LBB2_221
; %bb.218:
	v_cmp_nge_f64_e64 s[4:5], v[50:51], v[34:35]
	v_cmp_nge_f64_e64 s[8:9], v[12:13], v[34:35]
	s_or_b64 s[8:9], s[4:5], s[8:9]
	v_cmp_nge_f64_e64 s[4:5], v[98:99], v[34:35]
	s_or_b64 s[4:5], s[8:9], s[4:5]
	v_mov_b32_e32 v18, 4
	s_and_saveexec_b64 s[18:19], s[4:5]
	s_cbranch_execz .LBB2_220
; %bb.219:
	v_cmp_le_f64_e64 s[4:5], 0, v[50:51]
	v_cmp_le_f64_e64 s[8:9], 0, v[12:13]
	s_and_b64 s[8:9], s[4:5], s[8:9]
	v_cmp_le_f64_e64 s[4:5], 0, v[98:99]
	s_and_b64 s[8:9], s[8:9], s[4:5]
	v_cmp_lt_f64_e64 s[4:5], v[50:51], v[34:35]
	s_and_b64 s[8:9], s[4:5], s[8:9]
	v_cmp_lt_f64_e64 s[4:5], v[12:13], v[34:35]
	;; [unrolled: 2-line block ×3, first 2 shown]
	v_mov_b32_e32 v18, 0
	v_mov_b32_e32 v19, 8
	s_and_b64 s[4:5], s[8:9], s[4:5]
	v_cndmask_b32_e64 v18, v19, v18, s[4:5]
.LBB2_220:
	s_or_b64 exec, exec, s[18:19]
.LBB2_221:
	s_or_b64 exec, exec, s[16:17]
	buffer_load_dword v19, v18, s[0:3], 0 offen
	s_waitcnt vmcnt(0)
	v_or_b32_e32 v19, 0x200000, v19
	buffer_store_dword v19, v18, s[0:3], 0 offen
.LBB2_222:
	s_or_b64 exec, exec, s[14:15]
	s_and_b64 s[4:5], s[12:13], s[6:7]
	s_and_b64 s[4:5], s[4:5], s[10:11]
	s_xor_b64 s[4:5], s[4:5], -1
	s_and_saveexec_b64 s[12:13], s[4:5]
	s_cbranch_execz .LBB2_232
; %bb.223:
	v_cmp_nle_f64_e64 s[4:5], 1.0, v[102:103]
	v_cmp_nle_f64_e64 s[8:9], 1.0, v[20:21]
	s_or_b64 s[8:9], s[4:5], s[8:9]
	v_cmp_nle_f64_e64 s[4:5], 1.0, v[72:73]
	s_or_b64 s[4:5], s[8:9], s[4:5]
	s_and_b64 exec, exec, s[4:5]
	s_cbranch_execz .LBB2_232
; %bb.224:
	v_cmp_ngt_f64_e64 s[4:5], 0, v[100:101]
	v_cmp_ngt_f64_e64 s[8:9], 0, v[16:17]
	s_or_b64 s[8:9], s[4:5], s[8:9]
	v_cmp_ngt_f64_e64 s[4:5], 0, v[70:71]
	s_or_b64 s[4:5], s[8:9], s[4:5]
	s_and_b64 exec, exec, s[4:5]
	s_cbranch_execz .LBB2_232
; %bb.225:
	v_cmp_nle_f64_e64 s[4:5], 1.0, v[100:101]
	v_cmp_nle_f64_e64 s[8:9], 1.0, v[16:17]
	s_or_b64 s[8:9], s[4:5], s[8:9]
	v_cmp_nle_f64_e64 s[4:5], 1.0, v[70:71]
	s_or_b64 s[4:5], s[8:9], s[4:5]
	s_and_b64 exec, exec, s[4:5]
	s_cbranch_execz .LBB2_232
; %bb.226:
	v_cmp_ngt_f64_e64 s[4:5], 0, v[98:99]
	v_cmp_ngt_f64_e64 s[8:9], 0, v[12:13]
	s_or_b64 s[8:9], s[4:5], s[8:9]
	v_cmp_ngt_f64_e64 s[4:5], 0, v[62:63]
	s_or_b64 s[4:5], s[8:9], s[4:5]
	s_and_b64 exec, exec, s[4:5]
	s_cbranch_execz .LBB2_232
; %bb.227:
	v_cmp_le_f64_e64 s[4:5], 0, v[102:103]
	v_cmp_le_f64_e64 s[8:9], 0, v[20:21]
	s_and_b64 s[8:9], s[4:5], s[8:9]
	v_cmp_le_f64_e64 s[4:5], 0, v[72:73]
	s_and_b64 s[8:9], s[8:9], s[4:5]
	v_cmp_gt_f64_e64 s[4:5], 1.0, v[102:103]
	s_and_b64 s[8:9], s[4:5], s[8:9]
	v_cmp_gt_f64_e64 s[4:5], 1.0, v[20:21]
	;; [unrolled: 2-line block ×3, first 2 shown]
	s_and_b64 s[8:9], s[8:9], s[4:5]
	v_cmp_le_f64_e64 s[4:5], 0, v[100:101]
	s_and_b64 s[8:9], s[4:5], s[8:9]
	v_cmp_le_f64_e64 s[4:5], 0, v[16:17]
	;; [unrolled: 2-line block ×3, first 2 shown]
	s_and_b64 s[8:9], s[8:9], s[4:5]
	v_cmp_gt_f64_e64 s[4:5], 1.0, v[100:101]
	s_and_b64 s[8:9], s[4:5], s[8:9]
	v_cmp_gt_f64_e64 s[4:5], 1.0, v[16:17]
	;; [unrolled: 2-line block ×3, first 2 shown]
	s_and_b64 s[4:5], s[8:9], s[4:5]
	v_mov_b32_e32 v18, 8
	s_and_saveexec_b64 s[14:15], s[4:5]
	s_cbranch_execz .LBB2_231
; %bb.228:
	v_cmp_nge_f64_e64 s[4:5], v[98:99], v[34:35]
	v_cmp_nge_f64_e64 s[8:9], v[12:13], v[34:35]
	s_or_b64 s[8:9], s[4:5], s[8:9]
	v_cmp_nge_f64_e64 s[4:5], v[62:63], v[34:35]
	s_or_b64 s[4:5], s[8:9], s[4:5]
	v_mov_b32_e32 v18, 4
	s_and_saveexec_b64 s[16:17], s[4:5]
	s_cbranch_execz .LBB2_230
; %bb.229:
	v_cmp_le_f64_e64 s[4:5], 0, v[98:99]
	v_cmp_le_f64_e64 s[8:9], 0, v[12:13]
	s_and_b64 s[8:9], s[4:5], s[8:9]
	v_cmp_le_f64_e64 s[4:5], 0, v[62:63]
	s_and_b64 s[8:9], s[8:9], s[4:5]
	v_cmp_lt_f64_e64 s[4:5], v[98:99], v[34:35]
	s_and_b64 s[8:9], s[4:5], s[8:9]
	v_cmp_lt_f64_e64 s[4:5], v[12:13], v[34:35]
	;; [unrolled: 2-line block ×3, first 2 shown]
	v_mov_b32_e32 v18, 0
	v_mov_b32_e32 v19, 8
	s_and_b64 s[4:5], s[8:9], s[4:5]
	v_cndmask_b32_e64 v18, v19, v18, s[4:5]
.LBB2_230:
	s_or_b64 exec, exec, s[16:17]
.LBB2_231:
	s_or_b64 exec, exec, s[14:15]
	buffer_load_dword v19, v18, s[0:3], 0 offen
	s_waitcnt vmcnt(0)
	v_or_b32_e32 v19, 0x400000, v19
	buffer_store_dword v19, v18, s[0:3], 0 offen
.LBB2_232:
	s_or_b64 exec, exec, s[12:13]
	s_and_b64 s[4:5], s[10:11], s[6:7]
	s_and_b64 s[4:5], s[4:5], vcc
	s_xor_b64 s[4:5], s[4:5], -1
	s_and_saveexec_b64 s[6:7], s[4:5]
	s_cbranch_execz .LBB2_242
; %bb.233:
	v_cmp_nle_f64_e32 vcc, 1.0, v[72:73]
	v_cmp_nle_f64_e64 s[4:5], 1.0, v[20:21]
	s_or_b64 s[4:5], vcc, s[4:5]
	v_cmp_nle_f64_e32 vcc, 1.0, v[48:49]
	s_or_b64 s[4:5], s[4:5], vcc
	s_and_b64 exec, exec, s[4:5]
	s_cbranch_execz .LBB2_242
; %bb.234:
	v_cmp_ngt_f64_e32 vcc, 0, v[70:71]
	v_cmp_ngt_f64_e64 s[4:5], 0, v[16:17]
	s_or_b64 s[4:5], vcc, s[4:5]
	v_cmp_ngt_f64_e32 vcc, 0, v[46:47]
	s_or_b64 s[4:5], s[4:5], vcc
	s_and_b64 exec, exec, s[4:5]
	s_cbranch_execz .LBB2_242
; %bb.235:
	v_cmp_nle_f64_e32 vcc, 1.0, v[70:71]
	v_cmp_nle_f64_e64 s[4:5], 1.0, v[16:17]
	s_or_b64 s[4:5], vcc, s[4:5]
	v_cmp_nle_f64_e32 vcc, 1.0, v[46:47]
	s_or_b64 s[4:5], s[4:5], vcc
	s_and_b64 exec, exec, s[4:5]
	s_cbranch_execz .LBB2_242
; %bb.236:
	v_cmp_ngt_f64_e32 vcc, 0, v[62:63]
	v_cmp_ngt_f64_e64 s[4:5], 0, v[12:13]
	s_or_b64 s[4:5], vcc, s[4:5]
	v_cmp_ngt_f64_e32 vcc, 0, v[44:45]
	s_or_b64 s[4:5], s[4:5], vcc
	s_and_b64 exec, exec, s[4:5]
	s_cbranch_execz .LBB2_242
; %bb.237:
	v_cmp_le_f64_e32 vcc, 0, v[72:73]
	v_cmp_le_f64_e64 s[4:5], 0, v[20:21]
	s_and_b64 s[4:5], vcc, s[4:5]
	v_cmp_le_f64_e32 vcc, 0, v[48:49]
	s_and_b64 s[4:5], s[4:5], vcc
	v_cmp_gt_f64_e32 vcc, 1.0, v[72:73]
	s_and_b64 s[4:5], vcc, s[4:5]
	v_cmp_gt_f64_e32 vcc, 1.0, v[20:21]
	s_and_b64 s[4:5], s[4:5], vcc
	v_cmp_gt_f64_e32 vcc, 1.0, v[48:49]
	s_and_b64 s[4:5], s[4:5], vcc
	v_cmp_le_f64_e32 vcc, 0, v[70:71]
	s_and_b64 s[4:5], vcc, s[4:5]
	v_cmp_le_f64_e32 vcc, 0, v[16:17]
	s_and_b64 s[4:5], s[4:5], vcc
	v_cmp_le_f64_e32 vcc, 0, v[46:47]
	s_and_b64 s[4:5], s[4:5], vcc
	v_cmp_gt_f64_e32 vcc, 1.0, v[70:71]
	s_and_b64 s[4:5], vcc, s[4:5]
	v_cmp_gt_f64_e32 vcc, 1.0, v[16:17]
	s_and_b64 s[4:5], s[4:5], vcc
	v_cmp_gt_f64_e32 vcc, 1.0, v[46:47]
	s_and_b64 s[4:5], s[4:5], vcc
	v_mov_b32_e32 v16, 8
	s_and_saveexec_b64 s[8:9], s[4:5]
	s_cbranch_execz .LBB2_241
; %bb.238:
	v_cmp_nge_f64_e32 vcc, v[62:63], v[34:35]
	v_cmp_nge_f64_e64 s[4:5], v[12:13], v[34:35]
	s_or_b64 s[4:5], vcc, s[4:5]
	v_cmp_nge_f64_e32 vcc, v[44:45], v[34:35]
	s_or_b64 s[4:5], s[4:5], vcc
	v_mov_b32_e32 v16, 4
	s_and_saveexec_b64 s[10:11], s[4:5]
	s_cbranch_execz .LBB2_240
; %bb.239:
	v_cmp_le_f64_e32 vcc, 0, v[62:63]
	v_cmp_le_f64_e64 s[4:5], 0, v[12:13]
	s_and_b64 s[4:5], vcc, s[4:5]
	v_cmp_le_f64_e32 vcc, 0, v[44:45]
	s_and_b64 s[4:5], s[4:5], vcc
	v_cmp_lt_f64_e32 vcc, v[62:63], v[34:35]
	s_and_b64 s[4:5], vcc, s[4:5]
	v_cmp_lt_f64_e32 vcc, v[12:13], v[34:35]
	s_and_b64 s[4:5], s[4:5], vcc
	v_cmp_lt_f64_e32 vcc, v[44:45], v[34:35]
	v_mov_b32_e32 v12, 0
	v_mov_b32_e32 v13, 8
	s_and_b64 vcc, s[4:5], vcc
	v_cndmask_b32_e32 v16, v13, v12, vcc
.LBB2_240:
	s_or_b64 exec, exec, s[10:11]
.LBB2_241:
	s_or_b64 exec, exec, s[8:9]
	buffer_load_dword v12, v16, s[0:3], 0 offen
	s_waitcnt vmcnt(0)
	v_or_b32_e32 v12, 0x800000, v12
	buffer_store_dword v12, v16, s[0:3], 0 offen
.LBB2_242:
	s_or_b64 exec, exec, s[6:7]
	buffer_load_dword v12, off, s[0:3], 0 offset:8
	v_mov_b32_e32 v40, 0
	s_waitcnt vmcnt(0)
	v_and_b32_e32 v13, 1, v12
	v_cmp_eq_u32_e32 vcc, 1, v13
	s_and_saveexec_b64 s[4:5], vcc
	s_cbranch_execz .LBB2_244
; %bb.243:
	v_mov_b32_e32 v13, 0
	v_mov_b32_e32 v40, 1
	buffer_store_byte v13, off, s[0:3], 0 offset:16
.LBB2_244:
	s_or_b64 exec, exec, s[4:5]
	v_and_b32_e32 v13, 2, v12
	v_cmp_ne_u32_e32 vcc, 0, v13
	s_and_saveexec_b64 s[4:5], vcc
	s_cbranch_execz .LBB2_246
; %bb.245:
	v_add_u32_e32 v13, 1, v40
	v_or_b32_e32 v16, 16, v40
	v_mov_b32_e32 v17, 1
	v_mov_b32_e32 v40, v13
	buffer_store_byte v17, v16, s[0:3], 0 offen
.LBB2_246:
	s_or_b64 exec, exec, s[4:5]
	v_and_b32_e32 v13, 4, v12
	v_cmp_ne_u32_e32 vcc, 0, v13
	s_and_saveexec_b64 s[4:5], vcc
	s_cbranch_execz .LBB2_248
; %bb.247:
	v_or_b32_e32 v13, 16, v40
	v_add_u32_e32 v40, 1, v40
	v_mov_b32_e32 v16, 2
	buffer_store_byte v16, v13, s[0:3], 0 offen
.LBB2_248:
	s_or_b64 exec, exec, s[4:5]
	v_and_b32_e32 v13, 8, v12
	v_cmp_ne_u32_e32 vcc, 0, v13
	s_and_saveexec_b64 s[4:5], vcc
	s_cbranch_execz .LBB2_250
; %bb.249:
	v_or_b32_e32 v13, 16, v40
	v_add_u32_e32 v40, 1, v40
	v_mov_b32_e32 v16, 3
	buffer_store_byte v16, v13, s[0:3], 0 offen
.LBB2_250:
	;; [unrolled: 11-line block ×3, first 2 shown]
	s_or_b64 exec, exec, s[4:5]
	v_and_b32_e32 v13, 32, v12
	v_cmp_ne_u32_e32 vcc, 0, v13
	s_and_saveexec_b64 s[4:5], vcc
	s_cbranch_execz .LBB2_254
; %bb.253:
	v_add_u32_e32 v13, 16, v40
	v_add_u32_e32 v40, 1, v40
	v_mov_b32_e32 v16, 5
	buffer_store_byte v16, v13, s[0:3], 0 offen
.LBB2_254:
	s_or_b64 exec, exec, s[4:5]
	v_and_b32_e32 v13, 64, v12
	v_cmp_ne_u32_e32 vcc, 0, v13
	s_and_saveexec_b64 s[4:5], vcc
	s_cbranch_execz .LBB2_256
; %bb.255:
	v_add_u32_e32 v13, 16, v40
	v_add_u32_e32 v40, 1, v40
	v_mov_b32_e32 v16, 6
	buffer_store_byte v16, v13, s[0:3], 0 offen
.LBB2_256:
	;; [unrolled: 11-line block ×19, first 2 shown]
	s_or_b64 exec, exec, s[4:5]
	v_and_b32_e32 v12, 63, v30
	v_mov_b32_e32 v66, 0xf0
	v_mul_u32_u24_e32 v58, 0xf8, v12
	v_pk_mov_b32 v[12:13], 0, 0
	v_add_u32_e32 v59, 40, v66
	v_add_u32_e32 v60, 16, v66
	;; [unrolled: 1-line block ×3, first 2 shown]
	v_or_b32_e32 v62, 8, v66
	v_add_u32_e32 v63, 24, v66
	v_add_u32_e32 v64, 32, v66
	;; [unrolled: 1-line block ×3, first 2 shown]
	v_cmp_ne_u32_e32 vcc, 0, v40
	s_mov_b64 s[8:9], 0
	v_mul_f64 v[36:37], v[14:15], 0.5
	v_mul_f64 v[38:39], v[10:11], 0.5
	v_pk_mov_b32 v[10:11], v[12:13], v[12:13] op_sel:[0,1]
	v_pk_mov_b32 v[16:17], v[12:13], v[12:13] op_sel:[0,1]
	;; [unrolled: 1-line block ×3, first 2 shown]
	s_and_saveexec_b64 s[10:11], vcc
	s_cbranch_execz .LBB2_454
; %bb.291:
	v_mov_b32_e32 v42, 0
	v_pk_mov_b32 v[14:15], 0, 0
	s_mov_b32 s12, 0
	s_mov_b32 s14, 0x55555555
	v_mov_b32_e32 v41, v42
	v_add_u32_e32 v67, 0xa0, v58
	v_add_u32_e32 v68, 0x50, v58
	;; [unrolled: 1-line block ×10, first 2 shown]
	v_add_u32_e32 v77, -8, v58
	v_add_u32_e32 v78, 16, v58
	v_mov_b32_e32 v79, 16
	s_mov_b32 s13, 0x3fd00000
	s_mov_b32 s15, 0x3fd55555
	v_mov_b32_e32 v80, 0x3ff00000
	v_pk_mov_b32 v[16:17], v[14:15], v[14:15] op_sel:[0,1]
	v_pk_mov_b32 v[10:11], v[14:15], v[14:15] op_sel:[0,1]
	;; [unrolled: 1-line block ×3, first 2 shown]
	s_mov_b64 s[16:17], 0
	s_branch .LBB2_293
.LBB2_292:                              ;   in Loop: Header=BB2_293 Depth=1
	s_or_b64 exec, exec, s[4:5]
	s_add_u32 s16, s16, 1
	s_addc_u32 s17, s17, 0
	v_cmp_eq_u64_e32 vcc, s[16:17], v[40:41]
	s_or_b64 s[8:9], vcc, s[8:9]
	s_andn2_b64 exec, exec, s[8:9]
	s_cbranch_execz .LBB2_453
.LBB2_293:                              ; =>This Loop Header: Depth=1
                                        ;     Child Loop BB2_354 Depth 2
                                        ;     Child Loop BB2_368 Depth 2
	;; [unrolled: 1-line block ×11, first 2 shown]
	v_add_u32_e32 v18, s16, v79
	buffer_load_ubyte v21, v18, s[0:3], 0 offen
                                        ; implicit-def: $vgpr23
                                        ; implicit-def: $vgpr18
                                        ; implicit-def: $vgpr22
                                        ; implicit-def: $vgpr19
                                        ; implicit-def: $vgpr24
                                        ; implicit-def: $vgpr26
                                        ; implicit-def: $vgpr25
	s_waitcnt vmcnt(0)
	v_lshrrev_b32_e32 v20, 2, v21
	v_cmp_lt_i32_e32 vcc, 1, v20
	s_and_saveexec_b64 s[4:5], vcc
	s_xor_b64 s[4:5], exec, s[4:5]
	s_cbranch_execz .LBB2_307
; %bb.294:                              ;   in Loop: Header=BB2_293 Depth=1
	v_cmp_lt_i32_e32 vcc, 2, v20
                                        ; implicit-def: $vgpr23
                                        ; implicit-def: $vgpr18
                                        ; implicit-def: $vgpr22
                                        ; implicit-def: $vgpr19
                                        ; implicit-def: $vgpr24
                                        ; implicit-def: $vgpr26
                                        ; implicit-def: $vgpr25
	s_and_saveexec_b64 s[6:7], vcc
	s_xor_b64 s[6:7], exec, s[6:7]
	s_cbranch_execz .LBB2_304
; %bb.295:                              ;   in Loop: Header=BB2_293 Depth=1
	v_cmp_lt_i32_e32 vcc, 3, v20
                                        ; implicit-def: $vgpr23
                                        ; implicit-def: $vgpr18
                                        ; implicit-def: $vgpr22
                                        ; implicit-def: $vgpr19
                                        ; implicit-def: $vgpr24
                                        ; implicit-def: $vgpr26
                                        ; implicit-def: $vgpr25
	s_and_saveexec_b64 s[18:19], vcc
	s_xor_b64 s[18:19], exec, s[18:19]
	s_cbranch_execz .LBB2_301
; %bb.296:                              ;   in Loop: Header=BB2_293 Depth=1
	v_cmp_ne_u32_e32 vcc, 4, v20
                                        ; implicit-def: $sgpr22
                                        ; implicit-def: $sgpr23
                                        ; implicit-def: $sgpr24
                                        ; implicit-def: $sgpr25
	s_and_saveexec_b64 s[20:21], vcc
	s_xor_b64 s[20:21], exec, s[20:21]
; %bb.297:                              ;   in Loop: Header=BB2_293 Depth=1
	s_mov_b32 s25, 4
	s_mov_b32 s24, 6
	;; [unrolled: 1-line block ×4, first 2 shown]
; %bb.298:                              ;   in Loop: Header=BB2_293 Depth=1
	s_or_saveexec_b64 s[20:21], s[20:21]
	v_mov_b32_e32 v23, s22
	v_mov_b32_e32 v22, s23
	;; [unrolled: 1-line block ×8, first 2 shown]
	s_xor_b64 exec, exec, s[20:21]
; %bb.299:                              ;   in Loop: Header=BB2_293 Depth=1
	v_mov_b32_e32 v25, 0xf0
	v_mov_b32_e32 v23, 2
	;; [unrolled: 1-line block ×8, first 2 shown]
; %bb.300:                              ;   in Loop: Header=BB2_293 Depth=1
	s_or_b64 exec, exec, s[20:21]
.LBB2_301:                              ;   in Loop: Header=BB2_293 Depth=1
	s_andn2_saveexec_b64 s[18:19], s[18:19]
; %bb.302:                              ;   in Loop: Header=BB2_293 Depth=1
	v_mov_b32_e32 v23, 6
	v_mov_b32_e32 v22, 7
	;; [unrolled: 1-line block ×8, first 2 shown]
; %bb.303:                              ;   in Loop: Header=BB2_293 Depth=1
	s_or_b64 exec, exec, s[18:19]
.LBB2_304:                              ;   in Loop: Header=BB2_293 Depth=1
	s_andn2_saveexec_b64 s[6:7], s[6:7]
; %bb.305:                              ;   in Loop: Header=BB2_293 Depth=1
	v_mov_b32_e32 v25, 0xf0
	v_mov_b32_e32 v23, 1
	;; [unrolled: 1-line block ×8, first 2 shown]
; %bb.306:                              ;   in Loop: Header=BB2_293 Depth=1
	s_or_b64 exec, exec, s[6:7]
.LBB2_307:                              ;   in Loop: Header=BB2_293 Depth=1
	s_andn2_saveexec_b64 s[4:5], s[4:5]
	s_cbranch_execz .LBB2_311
; %bb.308:                              ;   in Loop: Header=BB2_293 Depth=1
	v_cmp_lt_i32_e32 vcc, 0, v20
	v_mov_b32_e32 v25, 0xf0
	v_mov_b32_e32 v23, 4
	;; [unrolled: 1-line block ×7, first 2 shown]
	s_and_saveexec_b64 s[6:7], vcc
; %bb.309:                              ;   in Loop: Header=BB2_293 Depth=1
	v_mov_b32_e32 v23, 3
	v_mov_b32_e32 v22, 7
	;; [unrolled: 1-line block ×8, first 2 shown]
; %bb.310:                              ;   in Loop: Header=BB2_293 Depth=1
	s_or_b64 exec, exec, s[6:7]
.LBB2_311:                              ;   in Loop: Header=BB2_293 Depth=1
	s_or_b64 exec, exec, s[4:5]
	buffer_load_dword v29, v25, s[0:3], 0 offen offset:4
	buffer_load_dword v28, v25, s[0:3], 0 offen
	buffer_load_dword v45, v26, s[0:3], 0 offen offset:4
	buffer_load_dword v44, v26, s[0:3], 0 offen
	;; [unrolled: 2-line block ×3, first 2 shown]
	buffer_load_dword v46, v19, s[0:3], 0 offen
	buffer_load_dword v49, v18, s[0:3], 0 offen offset:4
	v_lshl_add_u32 v25, v20, 3, v66
	v_lshl_add_u32 v43, v24, 3, v66
	buffer_load_dword v18, v25, s[0:3], 0 offen offset:64
	buffer_load_dword v19, v25, s[0:3], 0 offen offset:68
	;; [unrolled: 1-line block ×3, first 2 shown]
	v_lshl_add_u32 v81, v22, 3, v66
	buffer_load_dword v50, v81, s[0:3], 0 offen offset:64
	buffer_load_dword v51, v81, s[0:3], 0 offen offset:68
	v_lshl_add_u32 v86, v23, 3, v66
	buffer_load_dword v53, v86, s[0:3], 0 offen offset:68
	buffer_load_dword v55, v43, s[0:3], 0 offen offset:132
	;; [unrolled: 1-line block ×11, first 2 shown]
	v_and_b32_e32 v25, 3, v21
	v_cmp_lt_i32_e32 vcc, 1, v25
                                        ; implicit-def: $vgpr21
	s_waitcnt vmcnt(20)
	v_add_f64 v[28:29], v[28:29], v[44:45]
	s_waitcnt vmcnt(17)
	v_add_f64 v[28:29], v[28:29], v[46:47]
	;; [unrolled: 2-line block ×3, first 2 shown]
	v_fma_f64 v[28:29], v[28:29], s[12:13], -v[0:1]
	v_mul_f64 v[28:29], v[32:33], v[28:29]
	s_waitcnt vmcnt(7)
	v_add_f64 v[18:19], v[18:19], v[26:27]
	s_waitcnt vmcnt(5)
	v_add_f64 v[26:27], v[56:57], v[54:55]
	v_add_f64 v[18:19], v[18:19], v[50:51]
	s_waitcnt vmcnt(1)
	v_add_f64 v[18:19], v[18:19], v[52:53]
	v_add_f64 v[26:27], v[26:27], v[84:85]
	v_fma_f64 v[18:19], v[18:19], s[12:13], -v[8:9]
	s_waitcnt vmcnt(0)
	v_add_f64 v[26:27], v[26:27], v[82:83]
	v_mul_f64 v[18:19], v[6:7], v[18:19]
	v_fma_f64 v[26:27], v[26:27], s[12:13], -v[4:5]
	ds_write2_b64 v58, v[28:29], v[18:19] offset0:1 offset1:11
	ds_write_b64 v58, v[26:27] offset:168
	s_and_saveexec_b64 s[4:5], vcc
	s_xor_b64 s[4:5], exec, s[4:5]
	s_cbranch_execz .LBB2_317
; %bb.312:                              ;   in Loop: Header=BB2_293 Depth=1
	v_cmp_lt_i32_e32 vcc, 2, v25
	s_and_saveexec_b64 s[6:7], vcc
	s_xor_b64 s[6:7], exec, s[6:7]
; %bb.313:                              ;   in Loop: Header=BB2_293 Depth=1
                                        ; implicit-def: $vgpr22
; %bb.314:                              ;   in Loop: Header=BB2_293 Depth=1
	s_or_saveexec_b64 s[6:7], s[6:7]
	v_mov_b32_e32 v21, v23
	s_xor_b64 exec, exec, s[6:7]
; %bb.315:                              ;   in Loop: Header=BB2_293 Depth=1
	v_mov_b32_e32 v21, v22
	v_mov_b32_e32 v20, v23
; %bb.316:                              ;   in Loop: Header=BB2_293 Depth=1
	s_or_b64 exec, exec, s[6:7]
                                        ; implicit-def: $vgpr24
                                        ; implicit-def: $vgpr22
                                        ; implicit-def: $vgpr25
.LBB2_317:                              ;   in Loop: Header=BB2_293 Depth=1
	s_andn2_saveexec_b64 s[4:5], s[4:5]
	s_cbranch_execz .LBB2_321
; %bb.318:                              ;   in Loop: Header=BB2_293 Depth=1
	v_cmp_eq_u32_e32 vcc, 1, v25
	s_and_saveexec_b64 s[6:7], vcc
; %bb.319:                              ;   in Loop: Header=BB2_293 Depth=1
	v_mov_b32_e32 v20, v24
	v_mov_b32_e32 v24, v22
; %bb.320:                              ;   in Loop: Header=BB2_293 Depth=1
	s_or_b64 exec, exec, s[6:7]
	v_mov_b32_e32 v21, v20
	v_mov_b32_e32 v20, v24
.LBB2_321:                              ;   in Loop: Header=BB2_293 Depth=1
	s_or_b64 exec, exec, s[4:5]
	v_lshl_add_u32 v43, v21, 3, v66
	buffer_load_dword v22, v43, s[0:3], 0 offen
	buffer_load_dword v23, v43, s[0:3], 0 offen offset:4
	v_lshl_add_u32 v46, v20, 3, v66
	buffer_load_dword v20, v46, s[0:3], 0 offen
	buffer_load_dword v21, v46, s[0:3], 0 offen offset:4
	buffer_load_dword v24, v43, s[0:3], 0 offen offset:128
	buffer_load_dword v27, v43, s[0:3], 0 offen offset:68
	buffer_load_dword v26, v43, s[0:3], 0 offen offset:64
	buffer_load_dword v28, v46, s[0:3], 0 offen offset:128
	buffer_load_dword v45, v46, s[0:3], 0 offen offset:68
	buffer_load_dword v44, v46, s[0:3], 0 offen offset:64
	buffer_load_dword v25, v43, s[0:3], 0 offen offset:132
	buffer_load_dword v29, v46, s[0:3], 0 offen offset:132
	s_mov_b64 s[4:5], 0
                                        ; implicit-def: $sgpr20
                                        ; implicit-def: $sgpr21
                                        ; implicit-def: $sgpr18
	s_waitcnt vmcnt(8)
	v_add_f64 v[20:21], v[20:21], -v[0:1]
	s_waitcnt vmcnt(5)
	v_add_f64 v[26:27], v[26:27], -v[8:9]
	s_waitcnt vmcnt(2)
	v_add_f64 v[48:49], v[44:45], -v[8:9]
	v_add_f64 v[46:47], v[22:23], -v[0:1]
	s_waitcnt vmcnt(1)
	v_add_f64 v[22:23], v[24:25], -v[4:5]
	s_waitcnt vmcnt(0)
	v_add_f64 v[24:25], v[28:29], -v[4:5]
	v_mul_f64 v[28:29], v[32:33], v[46:47]
	v_mul_f64 v[46:47], v[6:7], v[26:27]
	;; [unrolled: 1-line block ×4, first 2 shown]
	v_cmp_ngt_f64_e32 vcc, 1.0, v[46:47]
	ds_write2_b64 v58, v[22:23], v[24:25] offset0:20 offset1:22
	ds_write2_b64 v58, v[28:29], v[44:45] offset1:2
	ds_write2_b64 v58, v[46:47], v[20:21] offset0:10 offset1:12
                                        ; implicit-def: $vgpr26_vgpr27
	s_and_saveexec_b64 s[6:7], vcc
	s_xor_b64 s[6:7], exec, s[6:7]
	s_cbranch_execz .LBB2_325
; %bb.322:                              ;   in Loop: Header=BB2_293 Depth=1
	v_cmp_gt_f64_e32 vcc, 1.0, v[20:21]
                                        ; implicit-def: $sgpr20
                                        ; implicit-def: $sgpr21
                                        ; implicit-def: $vgpr26_vgpr27
	s_and_saveexec_b64 s[18:19], vcc
	s_xor_b64 s[18:19], exec, s[18:19]
	s_cbranch_execz .LBB2_324
; %bb.323:                              ;   in Loop: Header=BB2_293 Depth=1
	v_add_f64 v[26:27], v[46:47], -v[20:21]
	v_add_f64 v[46:47], -v[20:21], 1.0
	v_div_scale_f64 v[48:49], s[20:21], v[26:27], v[26:27], v[46:47]
	v_rcp_f64_e32 v[50:51], v[48:49]
	v_add_f64 v[28:29], v[28:29], -v[44:45]
	s_mov_b64 s[4:5], exec
	v_mov_b32_e32 v43, v80
	v_fma_f64 v[52:53], -v[48:49], v[50:51], 1.0
	v_fmac_f64_e32 v[50:51], v[50:51], v[52:53]
	v_fma_f64 v[52:53], -v[48:49], v[50:51], 1.0
	v_fmac_f64_e32 v[50:51], v[50:51], v[52:53]
	v_div_scale_f64 v[52:53], vcc, v[46:47], v[26:27], v[46:47]
	v_mul_f64 v[54:55], v[52:53], v[50:51]
	v_fma_f64 v[48:49], -v[48:49], v[54:55], v[52:53]
	s_mov_b32 s21, 9
	s_nop 0
	v_div_fmas_f64 v[48:49], v[48:49], v[50:51], v[54:55]
	v_div_fixup_f64 v[26:27], v[48:49], v[26:27], v[46:47]
	v_fmac_f64_e32 v[44:45], v[28:29], v[26:27]
	s_mov_b32 s20, 8
	ds_write2_b64 v58, v[44:45], v[42:43] offset0:9 offset1:19
.LBB2_324:                              ;   in Loop: Header=BB2_293 Depth=1
	s_or_b64 exec, exec, s[18:19]
	s_mov_b32 s18, 9
	s_and_b64 s[4:5], s[4:5], exec
                                        ; implicit-def: $vgpr28_vgpr29
                                        ; implicit-def: $vgpr46_vgpr47
                                        ; implicit-def: $vgpr44_vgpr45
.LBB2_325:                              ;   in Loop: Header=BB2_293 Depth=1
	s_or_saveexec_b64 s[6:7], s[6:7]
	v_mov_b32_e32 v43, s20
	v_mov_b32_e32 v49, s21
	;; [unrolled: 1-line block ×3, first 2 shown]
	s_xor_b64 exec, exec, s[6:7]
	s_cbranch_execz .LBB2_329
; %bb.326:                              ;   in Loop: Header=BB2_293 Depth=1
	v_cmp_le_f64_e32 vcc, 1.0, v[20:21]
	s_mov_b64 s[20:21], s[4:5]
	ds_write2_b64 v58, v[28:29], v[46:47] offset0:9 offset1:19
	ds_write_b64 v58, v[22:23] offset:232
                                        ; implicit-def: $sgpr23
                                        ; implicit-def: $sgpr22
                                        ; implicit-def: $vgpr26_vgpr27
	s_and_saveexec_b64 s[18:19], vcc
	s_cbranch_execz .LBB2_328
; %bb.327:                              ;   in Loop: Header=BB2_293 Depth=1
	v_add_f64 v[26:27], v[20:21], -v[46:47]
	v_add_f64 v[46:47], -v[46:47], 1.0
	v_div_scale_f64 v[48:49], s[20:21], v[26:27], v[26:27], v[46:47]
	v_rcp_f64_e32 v[50:51], v[48:49]
	v_add_f64 v[44:45], v[44:45], -v[28:29]
	v_mov_b32_e32 v43, v80
	s_mov_b32 s22, 8
	v_fma_f64 v[52:53], -v[48:49], v[50:51], 1.0
	v_fmac_f64_e32 v[50:51], v[50:51], v[52:53]
	v_fma_f64 v[52:53], -v[48:49], v[50:51], 1.0
	v_fmac_f64_e32 v[50:51], v[50:51], v[52:53]
	v_div_scale_f64 v[52:53], vcc, v[46:47], v[26:27], v[46:47]
	v_mul_f64 v[54:55], v[52:53], v[50:51]
	v_fma_f64 v[48:49], -v[48:49], v[54:55], v[52:53]
	s_mov_b32 s23, 7
	s_nop 0
	v_div_fmas_f64 v[48:49], v[48:49], v[50:51], v[54:55]
	v_div_fixup_f64 v[26:27], v[48:49], v[26:27], v[46:47]
	v_fmac_f64_e32 v[28:29], v[44:45], v[26:27]
	s_or_b64 s[20:21], s[4:5], exec
	ds_write2_b64 v58, v[28:29], v[42:43] offset0:8 offset1:18
.LBB2_328:                              ;   in Loop: Header=BB2_293 Depth=1
	s_or_b64 exec, exec, s[18:19]
	v_pk_mov_b32 v[28:29], v[24:25], v[24:25] op_sel:[0,1]
	s_andn2_b64 s[4:5], s[4:5], exec
	s_and_b64 s[18:19], s[20:21], exec
	v_mov_b32_e32 v43, s23
	v_mov_b32_e32 v49, s22
	;; [unrolled: 1-line block ×3, first 2 shown]
	s_or_b64 s[4:5], s[4:5], s[18:19]
	v_pk_mov_b32 v[24:25], v[22:23], v[22:23] op_sel:[0,1]
	v_pk_mov_b32 v[22:23], v[28:29], v[28:29] op_sel:[0,1]
.LBB2_329:                              ;   in Loop: Header=BB2_293 Depth=1
	s_or_b64 exec, exec, s[6:7]
	s_and_saveexec_b64 s[6:7], s[4:5]
	s_cbranch_execz .LBB2_331
; %bb.330:                              ;   in Loop: Header=BB2_293 Depth=1
	v_add_f64 v[22:23], v[22:23], -v[24:25]
	v_fmac_f64_e32 v[24:25], v[26:27], v[22:23]
	v_lshl_add_u32 v22, v49, 3, v67
	v_mov_b32_e32 v48, v43
	ds_write_b64 v22, v[24:25]
.LBB2_331:                              ;   in Loop: Header=BB2_293 Depth=1
	s_or_b64 exec, exec, s[6:7]
	v_cmp_ngt_f64_e32 vcc, 1.0, v[20:21]
	s_mov_b64 s[4:5], 0
                                        ; implicit-def: $sgpr21
                                        ; implicit-def: $sgpr20
                                        ; implicit-def: $vgpr27
                                        ; implicit-def: $vgpr28
                                        ; implicit-def: $vgpr29
                                        ; implicit-def: $vgpr26
                                        ; implicit-def: $vgpr24_vgpr25
                                        ; implicit-def: $vgpr22_vgpr23
	s_and_saveexec_b64 s[6:7], vcc
	s_xor_b64 s[6:7], exec, s[6:7]
	s_cbranch_execz .LBB2_335
; %bb.332:                              ;   in Loop: Header=BB2_293 Depth=1
	v_cmp_gt_f64_e32 vcc, 1.0, v[18:19]
                                        ; implicit-def: $sgpr21
                                        ; implicit-def: $sgpr20
                                        ; implicit-def: $vgpr24_vgpr25
	s_and_saveexec_b64 s[18:19], vcc
; %bb.333:                              ;   in Loop: Header=BB2_293 Depth=1
	s_mov_b64 s[4:5], exec
	v_add_f64 v[24:25], v[20:21], -v[18:19]
	s_mov_b32 s20, 2
	s_mov_b32 s21, -1
; %bb.334:                              ;   in Loop: Header=BB2_293 Depth=1
	s_or_b64 exec, exec, s[18:19]
	s_and_b64 s[4:5], s[4:5], exec
	v_mov_b32_e32 v27, v70
	v_mov_b32_e32 v28, v71
	;; [unrolled: 1-line block ×4, first 2 shown]
	v_pk_mov_b32 v[22:23], v[18:19], v[18:19] op_sel:[0,1]
                                        ; implicit-def: $vgpr20_vgpr21
.LBB2_335:                              ;   in Loop: Header=BB2_293 Depth=1
	s_or_saveexec_b64 s[6:7], s[6:7]
	v_mov_b32_e32 v44, s21
	v_mov_b32_e32 v45, s20
	s_xor_b64 exec, exec, s[6:7]
	s_cbranch_execz .LBB2_339
; %bb.336:                              ;   in Loop: Header=BB2_293 Depth=1
	v_lshl_add_u32 v22, v48, 3, v58
	ds_write_b64 v22, v[20:21] offset:80
	ds_read_b64 v[18:19], v58 offset:16
	v_add_u32_e32 v26, -1, v48
	s_mov_b64 s[18:19], s[4:5]
                                        ; implicit-def: $sgpr23
                                        ; implicit-def: $sgpr22
                                        ; implicit-def: $vgpr24_vgpr25
	s_waitcnt lgkmcnt(0)
	ds_write_b64 v22, v[18:19]
	ds_read_b64 v[18:19], v58 offset:176
	s_waitcnt lgkmcnt(0)
	ds_write_b64 v22, v[18:19] offset:160
	ds_read_b64 v[22:23], v58 offset:88
                                        ; implicit-def: $vgpr18_vgpr19
	s_waitcnt lgkmcnt(0)
	v_cmp_le_f64_e32 vcc, 1.0, v[22:23]
	s_and_saveexec_b64 s[20:21], vcc
	s_cbranch_execz .LBB2_338
; %bb.337:                              ;   in Loop: Header=BB2_293 Depth=1
	ds_read_b64 v[18:19], v58 offset:96
	s_mov_b32 s22, 1
	s_mov_b32 s23, -2
	s_or_b64 s[18:19], s[4:5], exec
	s_waitcnt lgkmcnt(0)
	v_add_f64 v[24:25], v[22:23], -v[18:19]
                                        ; implicit-def: $vgpr22_vgpr23
.LBB2_338:                              ;   in Loop: Header=BB2_293 Depth=1
	s_or_b64 exec, exec, s[20:21]
	s_andn2_b64 s[4:5], s[4:5], exec
	s_and_b64 s[18:19], s[18:19], exec
	v_mov_b32_e32 v44, s23
	v_mov_b32_e32 v45, s22
	s_or_b64 s[4:5], s[4:5], s[18:19]
	v_mov_b32_e32 v27, v72
	v_mov_b32_e32 v28, v69
	;; [unrolled: 1-line block ×3, first 2 shown]
.LBB2_339:                              ;   in Loop: Header=BB2_293 Depth=1
	s_or_b64 exec, exec, s[6:7]
	s_and_saveexec_b64 s[6:7], s[4:5]
	s_cbranch_execz .LBB2_341
; %bb.340:                              ;   in Loop: Header=BB2_293 Depth=1
	v_add_f64 v[18:19], -v[18:19], 1.0
	v_div_scale_f64 v[20:21], s[4:5], v[24:25], v[24:25], v[18:19]
	v_rcp_f64_e32 v[22:23], v[20:21]
	v_lshl_add_u32 v26, v26, 3, v58
	v_mov_b32_e32 v43, v80
	ds_write_b64 v26, v[42:43] offset:80
	v_fma_f64 v[50:51], -v[20:21], v[22:23], 1.0
	v_fmac_f64_e32 v[22:23], v[22:23], v[50:51]
	v_fma_f64 v[50:51], -v[20:21], v[22:23], 1.0
	ds_read_b64 v[52:53], v29
	ds_read_b64 v[28:29], v28
	v_div_scale_f64 v[46:47], vcc, v[18:19], v[24:25], v[18:19]
	v_fmac_f64_e32 v[22:23], v[22:23], v[50:51]
	v_mul_f64 v[50:51], v[46:47], v[22:23]
	v_fma_f64 v[20:21], -v[20:21], v[50:51], v[46:47]
	s_nop 0
	v_div_fmas_f64 v[20:21], v[20:21], v[22:23], v[50:51]
	v_div_fixup_f64 v[18:19], v[20:21], v[24:25], v[18:19]
	s_waitcnt lgkmcnt(0)
	v_add_f64 v[20:21], v[28:29], -v[52:53]
	v_fmac_f64_e32 v[52:53], v[18:19], v[20:21]
	ds_write_b64 v26, v[52:53]
	v_lshl_add_u32 v22, v45, 3, v67
	ds_read_b64 v[20:21], v27
	ds_read_b64 v[22:23], v22
	s_waitcnt lgkmcnt(0)
	v_add_f64 v[22:23], v[22:23], -v[20:21]
	v_fmac_f64_e32 v[20:21], v[18:19], v[22:23]
	ds_write_b64 v26, v[20:21] offset:160
	ds_read_b64 v[22:23], v58 offset:88
	v_add_u32_e32 v26, v44, v48
.LBB2_341:                              ;   in Loop: Header=BB2_293 Depth=1
	s_or_b64 exec, exec, s[6:7]
	s_waitcnt lgkmcnt(0)
	v_cmp_ngt_f64_e32 vcc, 1.0, v[22:23]
	s_mov_b64 s[4:5], 0
                                        ; implicit-def: $sgpr21
                                        ; implicit-def: $sgpr20
                                        ; implicit-def: $vgpr25
                                        ; implicit-def: $vgpr27
                                        ; implicit-def: $vgpr28
                                        ; implicit-def: $vgpr24
                                        ; implicit-def: $vgpr18_vgpr19
                                        ; implicit-def: $vgpr20_vgpr21
	s_and_saveexec_b64 s[6:7], vcc
	s_xor_b64 s[6:7], exec, s[6:7]
	s_cbranch_execz .LBB2_345
; %bb.342:                              ;   in Loop: Header=BB2_293 Depth=1
	ds_read_b64 v[20:21], v68
                                        ; implicit-def: $sgpr21
                                        ; implicit-def: $sgpr20
                                        ; implicit-def: $vgpr18_vgpr19
	s_waitcnt lgkmcnt(0)
	v_cmp_gt_f64_e32 vcc, 1.0, v[20:21]
	s_and_saveexec_b64 s[18:19], vcc
; %bb.343:                              ;   in Loop: Header=BB2_293 Depth=1
	s_mov_b64 s[4:5], exec
	v_add_f64 v[18:19], v[22:23], -v[20:21]
	s_mov_b32 s20, 1
	s_mov_b32 s21, -1
; %bb.344:                              ;   in Loop: Header=BB2_293 Depth=1
	s_or_b64 exec, exec, s[18:19]
	s_and_b64 s[4:5], s[4:5], exec
	v_mov_b32_e32 v25, v67
	v_mov_b32_e32 v27, v69
	;; [unrolled: 1-line block ×4, first 2 shown]
                                        ; implicit-def: $vgpr22_vgpr23
.LBB2_345:                              ;   in Loop: Header=BB2_293 Depth=1
	s_or_saveexec_b64 s[6:7], s[6:7]
	v_mov_b32_e32 v29, s21
	v_mov_b32_e32 v44, s20
	s_xor_b64 exec, exec, s[6:7]
	s_cbranch_execz .LBB2_349
; %bb.346:                              ;   in Loop: Header=BB2_293 Depth=1
	v_lshl_add_u32 v20, v26, 3, v58
	ds_write_b64 v20, v[22:23] offset:80
	ds_read_b64 v[18:19], v58 offset:8
	v_add_u32_e32 v24, -1, v26
	s_mov_b64 s[18:19], s[4:5]
                                        ; implicit-def: $sgpr23
                                        ; implicit-def: $sgpr22
	s_waitcnt lgkmcnt(0)
	ds_write_b64 v20, v[18:19]
	ds_read_b64 v[18:19], v58 offset:168
	s_waitcnt lgkmcnt(0)
	ds_write_b64 v20, v[18:19] offset:160
	ds_read_b64 v[22:23], v58 offset:80
                                        ; implicit-def: $vgpr18_vgpr19
                                        ; implicit-def: $vgpr20_vgpr21
	s_waitcnt lgkmcnt(0)
	v_cmp_le_f64_e32 vcc, 1.0, v[22:23]
	s_and_saveexec_b64 s[20:21], vcc
	s_cbranch_execz .LBB2_348
; %bb.347:                              ;   in Loop: Header=BB2_293 Depth=1
	ds_read_b64 v[20:21], v58 offset:88
	s_mov_b32 s22, 0
	s_mov_b32 s23, -2
	s_or_b64 s[18:19], s[4:5], exec
	s_waitcnt lgkmcnt(0)
	v_add_f64 v[18:19], v[22:23], -v[20:21]
.LBB2_348:                              ;   in Loop: Header=BB2_293 Depth=1
	s_or_b64 exec, exec, s[20:21]
	s_andn2_b64 s[4:5], s[4:5], exec
	s_and_b64 s[18:19], s[18:19], exec
	v_mov_b32_e32 v29, s23
	v_mov_b32_e32 v44, s22
	s_or_b64 s[4:5], s[4:5], s[18:19]
	v_mov_b32_e32 v25, v70
	v_mov_b32_e32 v27, v58
	;; [unrolled: 1-line block ×3, first 2 shown]
.LBB2_349:                              ;   in Loop: Header=BB2_293 Depth=1
	s_or_b64 exec, exec, s[6:7]
	s_and_saveexec_b64 s[6:7], s[4:5]
	s_cbranch_execz .LBB2_351
; %bb.350:                              ;   in Loop: Header=BB2_293 Depth=1
	v_add_f64 v[20:21], -v[20:21], 1.0
	v_div_scale_f64 v[22:23], s[4:5], v[18:19], v[18:19], v[20:21]
	v_rcp_f64_e32 v[46:47], v[22:23]
	v_lshl_add_u32 v24, v24, 3, v58
	v_mov_b32_e32 v43, v80
	ds_write_b64 v24, v[42:43] offset:80
	v_fma_f64 v[50:51], -v[22:23], v[46:47], 1.0
	v_fmac_f64_e32 v[46:47], v[46:47], v[50:51]
	v_fma_f64 v[50:51], -v[22:23], v[46:47], 1.0
	ds_read_b64 v[52:53], v28
	ds_read_b64 v[54:55], v27
	v_div_scale_f64 v[48:49], vcc, v[20:21], v[18:19], v[20:21]
	v_fmac_f64_e32 v[46:47], v[46:47], v[50:51]
	v_mul_f64 v[50:51], v[48:49], v[46:47]
	v_fma_f64 v[22:23], -v[22:23], v[50:51], v[48:49]
	s_nop 0
	v_div_fmas_f64 v[22:23], v[22:23], v[46:47], v[50:51]
	v_div_fixup_f64 v[18:19], v[22:23], v[18:19], v[20:21]
	s_waitcnt lgkmcnt(0)
	v_add_f64 v[20:21], v[54:55], -v[52:53]
	v_fmac_f64_e32 v[52:53], v[18:19], v[20:21]
	ds_write_b64 v24, v[52:53]
	v_lshl_add_u32 v22, v44, 3, v67
	ds_read_b64 v[20:21], v25
	ds_read_b64 v[22:23], v22
	s_waitcnt lgkmcnt(0)
	v_add_f64 v[22:23], v[22:23], -v[20:21]
	v_fmac_f64_e32 v[20:21], v[18:19], v[22:23]
	ds_write_b64 v24, v[20:21] offset:160
	v_add_u32_e32 v24, v29, v26
.LBB2_351:                              ;   in Loop: Header=BB2_293 Depth=1
	s_or_b64 exec, exec, s[6:7]
	v_add_u32_e32 v18, 1, v24
	v_cmp_ne_u32_e32 vcc, 10, v18
	v_mov_b32_e32 v45, 0
	s_and_saveexec_b64 s[4:5], vcc
	s_cbranch_execz .LBB2_365
; %bb.352:                              ;   in Loop: Header=BB2_293 Depth=1
	v_add_co_u32_e32 v20, vcc, -9, v24
	v_addc_co_u32_e64 v21, s[6:7], 0, -1, vcc
	v_mov_b32_e32 v19, v42
	v_lshl_add_u32 v44, v24, 3, v58
	s_mov_b64 s[6:7], 0
	v_mov_b32_e32 v22, 9
	v_mov_b32_e32 v45, 0
	;; [unrolled: 1-line block ×3, first 2 shown]
	s_branch .LBB2_354
.LBB2_353:                              ;   in Loop: Header=BB2_354 Depth=2
	s_or_b64 exec, exec, s[20:21]
	v_add_co_u32_e32 v24, vcc, 1, v18
	v_addc_co_u32_e32 v25, vcc, 0, v19, vcc
	v_add_co_u32_e32 v20, vcc, 1, v20
	v_addc_co_u32_e32 v21, vcc, 0, v21, vcc
	v_cmp_eq_u64_e32 vcc, 0, v[20:21]
	v_add_u32_e32 v44, 8, v44
	s_or_b64 s[6:7], vcc, s[6:7]
	v_pk_mov_b32 v[22:23], v[18:19], v[18:19] op_sel:[0,1]
	v_pk_mov_b32 v[18:19], v[24:25], v[24:25] op_sel:[0,1]
	s_andn2_b64 exec, exec, s[6:7]
	s_cbranch_execz .LBB2_364
.LBB2_354:                              ;   Parent Loop BB2_293 Depth=1
                                        ; =>  This Inner Loop Header: Depth=2
	v_lshl_add_u32 v46, v22, 3, v58
	ds_read_b64 v[26:27], v46 offset:80
	s_mov_b64 s[18:19], 0
                                        ; implicit-def: $vgpr28
                                        ; implicit-def: $vgpr24_vgpr25
                                        ; implicit-def: $vgpr23
	s_waitcnt lgkmcnt(0)
	v_cmp_le_f64_e32 vcc, 0, v[26:27]
	s_and_saveexec_b64 s[20:21], vcc
	s_xor_b64 s[20:21], exec, s[20:21]
	s_cbranch_execnz .LBB2_357
; %bb.355:                              ;   in Loop: Header=BB2_354 Depth=2
	s_andn2_saveexec_b64 s[20:21], s[20:21]
	s_cbranch_execnz .LBB2_360
.LBB2_356:                              ;   in Loop: Header=BB2_354 Depth=2
	s_or_b64 exec, exec, s[20:21]
	s_and_saveexec_b64 s[20:21], s[18:19]
	s_cbranch_execz .LBB2_353
	s_branch .LBB2_363
.LBB2_357:                              ;   in Loop: Header=BB2_354 Depth=2
	v_lshl_add_u32 v29, v45, 3, v58
	ds_write_b64 v29, v[26:27] offset:80
	ds_read_b64 v[22:23], v46
	v_add_u32_e32 v28, 1, v45
                                        ; implicit-def: $vgpr24_vgpr25
	s_waitcnt lgkmcnt(0)
	ds_write_b64 v29, v[22:23]
	ds_read_b64 v[22:23], v46 offset:160
	s_waitcnt lgkmcnt(0)
	ds_write_b64 v29, v[22:23] offset:160
	ds_read_b64 v[26:27], v44 offset:88
                                        ; implicit-def: $vgpr23
                                        ; implicit-def: $vgpr22
	s_waitcnt lgkmcnt(0)
	v_cmp_gt_f64_e32 vcc, 0, v[26:27]
	s_and_saveexec_b64 s[22:23], vcc
	s_cbranch_execz .LBB2_359
; %bb.358:                              ;   in Loop: Header=BB2_354 Depth=2
	ds_read_b64 v[24:25], v46 offset:80
	v_add_f64 v[48:49], -v[26:27], 0
	v_lshl_add_u32 v45, v45, 3, v73
	v_mov_b32_e32 v43, v42
	ds_write_b64 v45, v[42:43]
	s_waitcnt lgkmcnt(1)
	v_add_f64 v[24:25], v[24:25], -v[26:27]
	v_div_scale_f64 v[26:27], s[24:25], v[24:25], v[24:25], v[48:49]
	v_rcp_f64_e32 v[50:51], v[26:27]
	v_add_u32_e32 v23, 0xa0, v46
	ds_read_b64 v[56:57], v44 offset:8
	ds_read_b64 v[46:47], v46
	v_div_scale_f64 v[52:53], vcc, v[48:49], v[24:25], v[48:49]
	v_fma_f64 v[54:55], -v[26:27], v[50:51], 1.0
	v_fmac_f64_e32 v[50:51], v[50:51], v[54:55]
	v_fma_f64 v[54:55], -v[26:27], v[50:51], 1.0
	v_fmac_f64_e32 v[50:51], v[50:51], v[54:55]
	v_mul_f64 v[54:55], v[52:53], v[50:51]
	v_fma_f64 v[26:27], -v[26:27], v[54:55], v[52:53]
	v_div_fmas_f64 v[26:27], v[26:27], v[50:51], v[54:55]
	v_div_fixup_f64 v[24:25], v[26:27], v[24:25], v[48:49]
	s_waitcnt lgkmcnt(0)
	v_add_f64 v[26:27], v[46:47], -v[56:57]
	s_mov_b64 s[18:19], exec
	v_add_u32_e32 v22, 10, v20
	v_fmac_f64_e32 v[56:57], v[24:25], v[26:27]
	ds_write_b64 v29, v[56:57] offset:8
.LBB2_359:                              ;   in Loop: Header=BB2_354 Depth=2
	s_or_b64 exec, exec, s[22:23]
	s_and_b64 s[18:19], s[18:19], exec
	v_mov_b32_e32 v45, v28
                                        ; implicit-def: $vgpr26_vgpr27
                                        ; implicit-def: $vgpr46
	s_andn2_saveexec_b64 s[20:21], s[20:21]
	s_cbranch_execz .LBB2_356
.LBB2_360:                              ;   in Loop: Header=BB2_354 Depth=2
	ds_read_b64 v[28:29], v44 offset:88
	s_mov_b64 s[24:25], s[18:19]
                                        ; implicit-def: $vgpr24_vgpr25
                                        ; implicit-def: $vgpr23
	s_waitcnt lgkmcnt(0)
	v_cmp_le_f64_e32 vcc, 0, v[28:29]
	s_and_saveexec_b64 s[22:23], vcc
	s_cbranch_execz .LBB2_362
; %bb.361:                              ;   in Loop: Header=BB2_354 Depth=2
	v_add_f64 v[24:25], v[28:29], -v[26:27]
	v_add_f64 v[26:27], -v[26:27], 0
	v_div_scale_f64 v[28:29], s[24:25], v[24:25], v[24:25], v[26:27]
	v_rcp_f64_e32 v[48:49], v[28:29]
	v_lshl_add_u32 v23, v45, 3, v58
	v_mov_b32_e32 v43, v42
	ds_write_b64 v23, v[42:43] offset:80
	v_fma_f64 v[50:51], -v[28:29], v[48:49], 1.0
	v_fmac_f64_e32 v[48:49], v[48:49], v[50:51]
	v_fma_f64 v[50:51], -v[28:29], v[48:49], 1.0
	ds_read_b64 v[46:47], v46
	ds_read_b64 v[54:55], v44 offset:8
	v_fmac_f64_e32 v[48:49], v[48:49], v[50:51]
	v_div_scale_f64 v[50:51], vcc, v[26:27], v[24:25], v[26:27]
	v_mul_f64 v[52:53], v[50:51], v[48:49]
	v_fma_f64 v[28:29], -v[28:29], v[52:53], v[50:51]
	s_or_b64 s[24:25], s[18:19], exec
	s_nop 0
	v_div_fmas_f64 v[28:29], v[28:29], v[48:49], v[52:53]
	v_div_fixup_f64 v[24:25], v[28:29], v[24:25], v[26:27]
	s_waitcnt lgkmcnt(0)
	v_add_f64 v[26:27], v[54:55], -v[46:47]
	v_fmac_f64_e32 v[46:47], v[24:25], v[26:27]
	ds_write_b64 v23, v[46:47]
	v_add_u32_e32 v23, 0xa8, v44
.LBB2_362:                              ;   in Loop: Header=BB2_354 Depth=2
	s_or_b64 exec, exec, s[22:23]
	s_andn2_b64 s[18:19], s[18:19], exec
	s_and_b64 s[22:23], s[24:25], exec
	s_or_b64 s[18:19], s[18:19], s[22:23]
	v_mov_b32_e32 v28, v45
	s_or_b64 exec, exec, s[20:21]
	s_and_saveexec_b64 s[20:21], s[18:19]
	s_cbranch_execz .LBB2_353
.LBB2_363:                              ;   in Loop: Header=BB2_354 Depth=2
	v_lshl_add_u32 v26, v22, 3, v67
	ds_read_b64 v[22:23], v23
	ds_read_b64 v[26:27], v26
	v_lshl_add_u32 v29, v28, 3, v67
	v_add_u32_e32 v45, 1, v28
	s_waitcnt lgkmcnt(0)
	v_add_f64 v[22:23], v[22:23], -v[26:27]
	v_fmac_f64_e32 v[26:27], v[24:25], v[22:23]
	ds_write_b64 v29, v[26:27]
	s_branch .LBB2_353
.LBB2_364:                              ;   in Loop: Header=BB2_293 Depth=1
	s_or_b64 exec, exec, s[6:7]
.LBB2_365:                              ;   in Loop: Header=BB2_293 Depth=1
	s_or_b64 exec, exec, s[4:5]
	v_cmp_ne_u32_e32 vcc, 0, v45
	v_mov_b32_e32 v20, 0
	s_and_saveexec_b64 s[4:5], vcc
	s_cbranch_execz .LBB2_379
; %bb.366:                              ;   in Loop: Header=BB2_293 Depth=1
	v_add_u32_e32 v18, -1, v45
	v_ashrrev_i32_e32 v19, 31, v18
	v_add_co_u32_e32 v20, vcc, 1, v18
	v_pk_mov_b32 v[22:23], 0, 0
	v_lshl_add_u32 v44, v45, 3, v74
	v_addc_co_u32_e32 v21, vcc, 0, v19, vcc
	s_mov_b64 s[6:7], 0
	v_mov_b32_e32 v23, 9
	s_branch .LBB2_368
.LBB2_367:                              ;   in Loop: Header=BB2_368 Depth=2
	s_or_b64 exec, exec, s[20:21]
	v_add_co_u32_e32 v24, vcc, -1, v18
	v_addc_co_u32_e32 v25, vcc, -1, v19, vcc
	v_add_co_u32_e32 v20, vcc, -1, v20
	v_addc_co_u32_e32 v21, vcc, -1, v21, vcc
	v_cmp_eq_u64_e32 vcc, 0, v[20:21]
	v_pk_mov_b32 v[22:23], v[18:19], v[18:19] op_sel:[0,1]
	v_add_u32_e32 v44, -8, v44
	s_or_b64 s[6:7], vcc, s[6:7]
	v_mov_b32_e32 v23, v28
	v_pk_mov_b32 v[18:19], v[24:25], v[24:25] op_sel:[0,1]
	s_andn2_b64 exec, exec, s[6:7]
	s_cbranch_execz .LBB2_378
.LBB2_368:                              ;   Parent Loop BB2_293 Depth=1
                                        ; =>  This Inner Loop Header: Depth=2
	v_lshl_add_u32 v45, v22, 3, v58
	ds_read_b64 v[26:27], v45
	v_add_u32_e32 v43, 0xffffff60, v44
	s_mov_b64 s[18:19], 0
                                        ; implicit-def: $sgpr24
                                        ; implicit-def: $vgpr28
                                        ; implicit-def: $vgpr24_vgpr25
                                        ; implicit-def: $vgpr29
	s_waitcnt lgkmcnt(0)
	v_cmp_ngt_f64_e32 vcc, 1.0, v[26:27]
	s_and_saveexec_b64 s[20:21], vcc
	s_xor_b64 s[20:21], exec, s[20:21]
	s_cbranch_execnz .LBB2_371
; %bb.369:                              ;   in Loop: Header=BB2_368 Depth=2
	s_or_saveexec_b64 s[20:21], s[20:21]
	v_mov_b32_e32 v46, s24
	s_xor_b64 exec, exec, s[20:21]
	s_cbranch_execnz .LBB2_374
.LBB2_370:                              ;   in Loop: Header=BB2_368 Depth=2
	s_or_b64 exec, exec, s[20:21]
	s_and_saveexec_b64 s[20:21], s[18:19]
	s_cbranch_execz .LBB2_367
	s_branch .LBB2_377
.LBB2_371:                              ;   in Loop: Header=BB2_368 Depth=2
	ds_read_b64 v[28:29], v43
                                        ; implicit-def: $sgpr24
                                        ; implicit-def: $vgpr24_vgpr25
	s_waitcnt lgkmcnt(0)
	v_cmp_gt_f64_e32 vcc, 1.0, v[28:29]
	s_and_saveexec_b64 s[22:23], vcc
	s_xor_b64 s[22:23], exec, s[22:23]
	s_cbranch_execz .LBB2_373
; %bb.372:                              ;   in Loop: Header=BB2_368 Depth=2
	v_add_f64 v[24:25], v[26:27], -v[28:29]
	v_add_f64 v[26:27], -v[28:29], 1.0
	v_div_scale_f64 v[28:29], s[24:25], v[24:25], v[24:25], v[26:27]
	v_rcp_f64_e32 v[46:47], v[28:29]
	v_lshl_add_u32 v56, v23, 3, v58
	v_mov_b32_e32 v43, v80
	ds_write_b64 v56, v[42:43]
	v_fma_f64 v[48:49], -v[28:29], v[46:47], 1.0
	v_fmac_f64_e32 v[46:47], v[46:47], v[48:49]
	v_add_u32_e32 v43, 0xffffffb0, v44
	v_fma_f64 v[48:49], -v[28:29], v[46:47], 1.0
	ds_read_b64 v[52:53], v43
	ds_read_b64 v[54:55], v45 offset:80
	v_fmac_f64_e32 v[46:47], v[46:47], v[48:49]
	v_div_scale_f64 v[48:49], vcc, v[26:27], v[24:25], v[26:27]
	v_mul_f64 v[50:51], v[48:49], v[46:47]
	v_fma_f64 v[28:29], -v[28:29], v[50:51], v[48:49]
	s_mov_b64 s[18:19], exec
	s_nop 0
	v_div_fmas_f64 v[28:29], v[28:29], v[46:47], v[50:51]
	v_div_fixup_f64 v[24:25], v[28:29], v[24:25], v[26:27]
	s_waitcnt lgkmcnt(0)
	v_add_f64 v[26:27], v[54:55], -v[52:53]
	v_fmac_f64_e32 v[52:53], v[24:25], v[26:27]
	s_mov_b32 s24, -1
	ds_write_b64 v56, v[52:53] offset:80
.LBB2_373:                              ;   in Loop: Header=BB2_368 Depth=2
	s_or_b64 exec, exec, s[22:23]
	s_and_b64 s[18:19], s[18:19], exec
	v_mov_b32_e32 v28, v23
	v_mov_b32_e32 v29, v44
                                        ; implicit-def: $vgpr26_vgpr27
                                        ; implicit-def: $vgpr45
                                        ; implicit-def: $vgpr43
	s_or_saveexec_b64 s[20:21], s[20:21]
	v_mov_b32_e32 v46, s24
	s_xor_b64 exec, exec, s[20:21]
	s_cbranch_execz .LBB2_370
.LBB2_374:                              ;   in Loop: Header=BB2_368 Depth=2
	v_lshl_add_u32 v46, v23, 3, v58
	ds_write_b64 v46, v[26:27]
	ds_read_b64 v[24:25], v45 offset:80
	v_add_u32_e32 v28, -1, v23
	s_mov_b64 s[24:25], s[18:19]
                                        ; implicit-def: $sgpr26
                                        ; implicit-def: $vgpr29
                                        ; implicit-def: $vgpr22
	s_waitcnt lgkmcnt(0)
	ds_write_b64 v46, v[24:25] offset:80
	ds_read_b64 v[24:25], v45 offset:160
	s_waitcnt lgkmcnt(0)
	ds_write_b64 v46, v[24:25] offset:160
	ds_read_b64 v[26:27], v43
                                        ; implicit-def: $vgpr24_vgpr25
	s_waitcnt lgkmcnt(0)
	v_cmp_le_f64_e32 vcc, 1.0, v[26:27]
	s_and_saveexec_b64 s[22:23], vcc
	s_cbranch_execz .LBB2_376
; %bb.375:                              ;   in Loop: Header=BB2_368 Depth=2
	ds_read_b64 v[24:25], v45
	v_add_u32_e32 v22, -8, v46
	v_mov_b32_e32 v43, v80
	ds_write_b64 v22, v[42:43]
	v_add_u32_e32 v22, 0xffffffb0, v44
	s_waitcnt lgkmcnt(1)
	v_add_f64 v[26:27], v[26:27], -v[24:25]
	v_add_f64 v[24:25], -v[24:25], 1.0
	v_div_scale_f64 v[48:49], s[24:25], v[26:27], v[26:27], v[24:25]
	v_rcp_f64_e32 v[50:51], v[48:49]
	ds_read_b64 v[56:57], v45 offset:80
	ds_read_b64 v[82:83], v22
	v_div_scale_f64 v[52:53], vcc, v[24:25], v[26:27], v[24:25]
	v_fma_f64 v[54:55], -v[48:49], v[50:51], 1.0
	v_fmac_f64_e32 v[50:51], v[50:51], v[54:55]
	v_fma_f64 v[54:55], -v[48:49], v[50:51], 1.0
	v_fmac_f64_e32 v[50:51], v[50:51], v[54:55]
	v_mul_f64 v[54:55], v[52:53], v[50:51]
	v_fma_f64 v[48:49], -v[48:49], v[54:55], v[52:53]
	v_div_fmas_f64 v[48:49], v[48:49], v[50:51], v[54:55]
	v_div_fixup_f64 v[24:25], v[48:49], v[26:27], v[24:25]
	s_waitcnt lgkmcnt(0)
	v_add_f64 v[26:27], v[82:83], -v[56:57]
	v_add_u32_e32 v29, 0xa0, v45
	v_fmac_f64_e32 v[56:57], v[24:25], v[26:27]
	s_mov_b32 s26, -2
	s_or_b64 s[24:25], s[18:19], exec
	v_mov_b32_e32 v22, v18
	ds_write_b64 v46, v[56:57] offset:72
.LBB2_376:                              ;   in Loop: Header=BB2_368 Depth=2
	s_or_b64 exec, exec, s[22:23]
	s_andn2_b64 s[18:19], s[18:19], exec
	s_and_b64 s[22:23], s[24:25], exec
	v_mov_b32_e32 v46, s26
	s_or_b64 s[18:19], s[18:19], s[22:23]
	s_or_b64 exec, exec, s[20:21]
	s_and_saveexec_b64 s[20:21], s[18:19]
	s_cbranch_execz .LBB2_367
.LBB2_377:                              ;   in Loop: Header=BB2_368 Depth=2
	v_lshl_add_u32 v22, v22, 3, v67
	ds_read_b64 v[26:27], v29
	ds_read_b64 v[48:49], v22
	v_lshl_add_u32 v22, v28, 3, v67
	s_waitcnt lgkmcnt(0)
	v_add_f64 v[28:29], v[48:49], -v[26:27]
	v_fmac_f64_e32 v[26:27], v[24:25], v[28:29]
	v_add_u32_e32 v28, v46, v23
	ds_write_b64 v22, v[26:27]
	s_branch .LBB2_367
.LBB2_378:                              ;   in Loop: Header=BB2_293 Depth=1
	s_or_b64 exec, exec, s[6:7]
	v_add_u32_e32 v20, -9, v28
.LBB2_379:                              ;   in Loop: Header=BB2_293 Depth=1
	s_or_b64 exec, exec, s[4:5]
	v_cmp_ne_u32_e32 vcc, 0, v20
	v_mov_b32_e32 v26, 0
	s_and_saveexec_b64 s[4:5], vcc
	s_cbranch_execz .LBB2_393
; %bb.380:                              ;   in Loop: Header=BB2_293 Depth=1
	v_add_u32_e32 v18, 10, v20
	v_ashrrev_i32_e32 v19, 31, v18
	v_lshl_add_u32 v27, v20, 3, v58
	v_add_co_u32_e32 v20, vcc, -10, v18
	v_addc_co_u32_e32 v21, vcc, -1, v19, vcc
	s_mov_b64 s[6:7], 0
	v_mov_b32_e32 v22, 9
	v_mov_b32_e32 v26, 0
	;; [unrolled: 1-line block ×3, first 2 shown]
	s_branch .LBB2_382
.LBB2_381:                              ;   in Loop: Header=BB2_382 Depth=2
	s_or_b64 exec, exec, s[20:21]
	v_add_co_u32_e32 v24, vcc, 1, v18
	v_addc_co_u32_e32 v25, vcc, 0, v19, vcc
	v_add_co_u32_e32 v20, vcc, 1, v20
	v_addc_co_u32_e32 v21, vcc, 0, v21, vcc
	v_cmp_eq_u64_e32 vcc, 0, v[20:21]
	v_add_u32_e32 v27, 8, v27
	s_or_b64 s[6:7], vcc, s[6:7]
	v_pk_mov_b32 v[22:23], v[18:19], v[18:19] op_sel:[0,1]
	v_pk_mov_b32 v[18:19], v[24:25], v[24:25] op_sel:[0,1]
	s_andn2_b64 exec, exec, s[6:7]
	s_cbranch_execz .LBB2_392
.LBB2_382:                              ;   Parent Loop BB2_293 Depth=1
                                        ; =>  This Inner Loop Header: Depth=2
	v_lshl_add_u32 v46, v22, 3, v58
	ds_read_b64 v[28:29], v46
	s_mov_b64 s[18:19], 0
                                        ; implicit-def: $vgpr44
                                        ; implicit-def: $vgpr24_vgpr25
                                        ; implicit-def: $vgpr23
	s_waitcnt lgkmcnt(0)
	v_cmp_le_f64_e32 vcc, 0, v[28:29]
	s_and_saveexec_b64 s[20:21], vcc
	s_xor_b64 s[20:21], exec, s[20:21]
	s_cbranch_execnz .LBB2_385
; %bb.383:                              ;   in Loop: Header=BB2_382 Depth=2
	s_andn2_saveexec_b64 s[20:21], s[20:21]
	s_cbranch_execnz .LBB2_388
.LBB2_384:                              ;   in Loop: Header=BB2_382 Depth=2
	s_or_b64 exec, exec, s[20:21]
	s_and_saveexec_b64 s[20:21], s[18:19]
	s_cbranch_execz .LBB2_381
	s_branch .LBB2_391
.LBB2_385:                              ;   in Loop: Header=BB2_382 Depth=2
	v_lshl_add_u32 v45, v26, 3, v58
	ds_write_b64 v45, v[28:29]
	ds_read_b64 v[22:23], v46 offset:80
	v_add_u32_e32 v44, 1, v26
                                        ; implicit-def: $vgpr24_vgpr25
	s_waitcnt lgkmcnt(0)
	ds_write_b64 v45, v[22:23] offset:80
	ds_read_b64 v[22:23], v46 offset:160
	s_waitcnt lgkmcnt(0)
	ds_write_b64 v45, v[22:23] offset:160
	ds_read_b64 v[28:29], v27 offset:80
                                        ; implicit-def: $vgpr23
                                        ; implicit-def: $vgpr22
	s_waitcnt lgkmcnt(0)
	v_cmp_gt_f64_e32 vcc, 0, v[28:29]
	s_and_saveexec_b64 s[22:23], vcc
	s_cbranch_execz .LBB2_387
; %bb.386:                              ;   in Loop: Header=BB2_382 Depth=2
	ds_read_b64 v[24:25], v46
	v_add_f64 v[48:49], -v[28:29], 0
	v_mov_b32_e32 v43, v42
	ds_write_b64 v45, v[42:43] offset:8
	v_add_u32_e32 v23, 0xa0, v46
	s_waitcnt lgkmcnt(1)
	v_add_f64 v[24:25], v[24:25], -v[28:29]
	v_div_scale_f64 v[28:29], s[24:25], v[24:25], v[24:25], v[48:49]
	v_rcp_f64_e32 v[50:51], v[28:29]
	ds_read_b64 v[56:57], v27 offset:160
	ds_read_b64 v[46:47], v46 offset:80
	v_div_scale_f64 v[52:53], vcc, v[48:49], v[24:25], v[48:49]
	v_fma_f64 v[54:55], -v[28:29], v[50:51], 1.0
	v_fmac_f64_e32 v[50:51], v[50:51], v[54:55]
	v_fma_f64 v[54:55], -v[28:29], v[50:51], 1.0
	v_fmac_f64_e32 v[50:51], v[50:51], v[54:55]
	v_mul_f64 v[54:55], v[52:53], v[50:51]
	v_fma_f64 v[28:29], -v[28:29], v[54:55], v[52:53]
	v_div_fmas_f64 v[28:29], v[28:29], v[50:51], v[54:55]
	v_div_fixup_f64 v[24:25], v[28:29], v[24:25], v[48:49]
	s_waitcnt lgkmcnt(0)
	v_add_f64 v[28:29], v[46:47], -v[56:57]
	v_fmac_f64_e32 v[56:57], v[24:25], v[28:29]
	v_lshl_add_u32 v22, v26, 3, v73
	s_mov_b64 s[18:19], exec
	ds_write_b64 v22, v[56:57]
	v_mov_b32_e32 v22, v18
.LBB2_387:                              ;   in Loop: Header=BB2_382 Depth=2
	s_or_b64 exec, exec, s[22:23]
	s_and_b64 s[18:19], s[18:19], exec
	v_mov_b32_e32 v26, v44
                                        ; implicit-def: $vgpr28_vgpr29
                                        ; implicit-def: $vgpr46
	s_andn2_saveexec_b64 s[20:21], s[20:21]
	s_cbranch_execz .LBB2_384
.LBB2_388:                              ;   in Loop: Header=BB2_382 Depth=2
	ds_read_b64 v[44:45], v27 offset:80
	s_mov_b64 s[24:25], s[18:19]
                                        ; implicit-def: $vgpr24_vgpr25
                                        ; implicit-def: $vgpr23
	s_waitcnt lgkmcnt(0)
	v_cmp_le_f64_e32 vcc, 0, v[44:45]
	s_and_saveexec_b64 s[22:23], vcc
	s_cbranch_execz .LBB2_390
; %bb.389:                              ;   in Loop: Header=BB2_382 Depth=2
	v_add_f64 v[24:25], v[44:45], -v[28:29]
	v_add_f64 v[28:29], -v[28:29], 0
	v_div_scale_f64 v[44:45], s[24:25], v[24:25], v[24:25], v[28:29]
	v_rcp_f64_e32 v[48:49], v[44:45]
	v_lshl_add_u32 v23, v26, 3, v58
	v_mov_b32_e32 v43, v42
	ds_write_b64 v23, v[42:43]
	v_fma_f64 v[50:51], -v[44:45], v[48:49], 1.0
	v_fmac_f64_e32 v[48:49], v[48:49], v[50:51]
	v_fma_f64 v[50:51], -v[44:45], v[48:49], 1.0
	ds_read_b64 v[46:47], v46 offset:80
	ds_read_b64 v[54:55], v27 offset:160
	v_fmac_f64_e32 v[48:49], v[48:49], v[50:51]
	v_div_scale_f64 v[50:51], vcc, v[28:29], v[24:25], v[28:29]
	v_mul_f64 v[52:53], v[50:51], v[48:49]
	v_fma_f64 v[44:45], -v[44:45], v[52:53], v[50:51]
	s_or_b64 s[24:25], s[18:19], exec
	s_nop 0
	v_div_fmas_f64 v[44:45], v[44:45], v[48:49], v[52:53]
	v_div_fixup_f64 v[24:25], v[44:45], v[24:25], v[28:29]
	s_waitcnt lgkmcnt(0)
	v_add_f64 v[28:29], v[54:55], -v[46:47]
	v_fmac_f64_e32 v[46:47], v[24:25], v[28:29]
	ds_write_b64 v23, v[46:47] offset:80
	v_add_u32_e32 v23, 0xf0, v27
.LBB2_390:                              ;   in Loop: Header=BB2_382 Depth=2
	s_or_b64 exec, exec, s[22:23]
	s_andn2_b64 s[18:19], s[18:19], exec
	s_and_b64 s[22:23], s[24:25], exec
	s_or_b64 s[18:19], s[18:19], s[22:23]
	v_mov_b32_e32 v44, v26
	s_or_b64 exec, exec, s[20:21]
	s_and_saveexec_b64 s[20:21], s[18:19]
	s_cbranch_execz .LBB2_381
.LBB2_391:                              ;   in Loop: Header=BB2_382 Depth=2
	v_lshl_add_u32 v26, v22, 3, v67
	ds_read_b64 v[22:23], v23
	ds_read_b64 v[28:29], v26
	v_lshl_add_u32 v26, v44, 3, v67
	s_waitcnt lgkmcnt(0)
	v_add_f64 v[22:23], v[22:23], -v[28:29]
	v_fmac_f64_e32 v[28:29], v[24:25], v[22:23]
	ds_write_b64 v26, v[28:29]
	v_add_u32_e32 v26, 1, v44
	s_branch .LBB2_381
.LBB2_392:                              ;   in Loop: Header=BB2_293 Depth=1
	s_or_b64 exec, exec, s[6:7]
.LBB2_393:                              ;   in Loop: Header=BB2_293 Depth=1
	s_or_b64 exec, exec, s[4:5]
	v_ashrrev_i32_e32 v27, 31, v26
	v_cmp_lt_i32_e64 s[4:5], 0, v26
	s_and_saveexec_b64 s[6:7], s[4:5]
	s_cbranch_execz .LBB2_396
; %bb.394:                              ;   in Loop: Header=BB2_293 Depth=1
	v_mov_b32_e32 v20, 48
	s_mov_b64 s[18:19], 0
	v_mov_b32_e32 v21, v58
	v_pk_mov_b32 v[18:19], v[26:27], v[26:27] op_sel:[0,1]
.LBB2_395:                              ;   Parent Loop BB2_293 Depth=1
                                        ; =>  This Inner Loop Header: Depth=2
	ds_read2_b64 v[22:25], v21 offset1:10
	ds_read_b64 v[28:29], v21 offset:160
	v_add_co_u32_e32 v18, vcc, -1, v18
	v_addc_co_u32_e32 v19, vcc, -1, v19, vcc
	v_cmp_eq_u64_e32 vcc, 0, v[18:19]
	v_add_u32_e32 v21, 8, v21
	s_or_b64 s[18:19], vcc, s[18:19]
	s_waitcnt lgkmcnt(1)
	buffer_store_dword v23, v20, s[0:3], 0 offen offset:4
	buffer_store_dword v22, v20, s[0:3], 0 offen
	buffer_store_dword v25, v20, s[0:3], 0 offen offset:68
	buffer_store_dword v24, v20, s[0:3], 0 offen offset:64
	s_waitcnt lgkmcnt(0)
	buffer_store_dword v29, v20, s[0:3], 0 offen offset:132
	buffer_store_dword v28, v20, s[0:3], 0 offen offset:128
	v_add_u32_e32 v20, 8, v20
	s_andn2_b64 exec, exec, s[18:19]
	s_cbranch_execnz .LBB2_395
.LBB2_396:                              ;   in Loop: Header=BB2_293 Depth=1
	s_or_b64 exec, exec, s[6:7]
	v_add_u32_e32 v28, -1, v26
	v_ashrrev_i32_e32 v29, 31, v28
	v_cmp_ne_u32_e64 s[6:7], 0, v26
	v_mov_b32_e32 v43, 9
	s_and_saveexec_b64 s[18:19], s[6:7]
	s_cbranch_execnz .LBB2_399
; %bb.397:                              ;   in Loop: Header=BB2_293 Depth=1
	s_or_b64 exec, exec, s[18:19]
	v_cmp_gt_i32_e32 vcc, 7, v43
	s_and_saveexec_b64 s[18:19], vcc
	s_cbranch_execnz .LBB2_412
.LBB2_398:                              ;   in Loop: Header=BB2_293 Depth=1
	s_or_b64 exec, exec, s[18:19]
	s_and_saveexec_b64 s[18:19], s[4:5]
	s_cbranch_execnz .LBB2_419
	s_branch .LBB2_421
.LBB2_399:                              ;   in Loop: Header=BB2_293 Depth=1
	v_add_co_u32_e32 v18, vcc, 1, v28
	v_lshl_add_u32 v48, v26, 3, v75
	v_addc_co_u32_e32 v19, vcc, 0, v29, vcc
	s_mov_b64 s[20:21], 0
	v_pk_mov_b32 v[22:23], 0, 0
	v_mov_b32_e32 v43, 9
	v_pk_mov_b32 v[20:21], v[28:29], v[28:29] op_sel:[0,1]
	s_branch .LBB2_401
.LBB2_400:                              ;   in Loop: Header=BB2_401 Depth=2
	s_or_b64 exec, exec, s[24:25]
	v_add_co_u32_e32 v24, vcc, -1, v20
	v_addc_co_u32_e32 v25, vcc, -1, v21, vcc
	v_add_co_u32_e32 v18, vcc, -1, v18
	v_addc_co_u32_e32 v19, vcc, -1, v19, vcc
	v_cmp_eq_u64_e32 vcc, 0, v[18:19]
	v_add_u32_e32 v48, -8, v48
	s_or_b64 s[20:21], vcc, s[20:21]
	v_pk_mov_b32 v[22:23], v[20:21], v[20:21] op_sel:[0,1]
	v_pk_mov_b32 v[20:21], v[24:25], v[24:25] op_sel:[0,1]
	s_andn2_b64 exec, exec, s[20:21]
	s_cbranch_execz .LBB2_411
.LBB2_401:                              ;   Parent Loop BB2_293 Depth=1
                                        ; =>  This Inner Loop Header: Depth=2
	v_lshl_add_u32 v23, v22, 3, v58
	ds_read_b64 v[44:45], v23 offset:160
	s_mov_b64 s[22:23], 0
                                        ; implicit-def: $vgpr24_vgpr25
                                        ; implicit-def: $vgpr46
	s_waitcnt lgkmcnt(0)
	v_cmp_ge_f64_e32 vcc, v[44:45], v[34:35]
	s_and_saveexec_b64 s[24:25], vcc
	s_xor_b64 s[24:25], exec, s[24:25]
	s_cbranch_execnz .LBB2_404
; %bb.402:                              ;   in Loop: Header=BB2_401 Depth=2
	s_andn2_saveexec_b64 s[24:25], s[24:25]
	s_cbranch_execnz .LBB2_407
.LBB2_403:                              ;   in Loop: Header=BB2_401 Depth=2
	s_or_b64 exec, exec, s[24:25]
	s_and_saveexec_b64 s[24:25], s[22:23]
	s_cbranch_execz .LBB2_400
	s_branch .LBB2_410
.LBB2_404:                              ;   in Loop: Header=BB2_401 Depth=2
	v_lshl_add_u32 v47, v43, 3, v58
	ds_write_b64 v47, v[44:45] offset:160
	ds_read_b64 v[24:25], v23
	v_add_u32_e32 v43, -1, v43
                                        ; implicit-def: $vgpr46
                                        ; implicit-def: $vgpr22
	s_waitcnt lgkmcnt(0)
	ds_write_b64 v47, v[24:25]
	ds_read_b64 v[24:25], v23 offset:80
	s_waitcnt lgkmcnt(0)
	ds_write_b64 v47, v[24:25] offset:80
	ds_read_b64 v[44:45], v48 offset:80
                                        ; implicit-def: $vgpr24_vgpr25
	s_waitcnt lgkmcnt(0)
	v_cmp_lt_f64_e32 vcc, v[44:45], v[34:35]
	s_and_saveexec_b64 s[26:27], vcc
	s_cbranch_execz .LBB2_406
; %bb.405:                              ;   in Loop: Header=BB2_401 Depth=2
	ds_read_b64 v[24:25], v23 offset:160
	v_add_f64 v[50:51], v[34:35], -v[44:45]
	v_add_u32_e32 v22, 0xffffffb0, v48
	ds_write_b64 v47, v[34:35] offset:152
	v_add_u32_e32 v46, 0x50, v23
	s_waitcnt lgkmcnt(1)
	v_add_f64 v[24:25], v[24:25], -v[44:45]
	v_div_scale_f64 v[44:45], s[28:29], v[24:25], v[24:25], v[50:51]
	v_rcp_f64_e32 v[52:53], v[44:45]
	ds_read_b64 v[82:83], v22
	ds_read_b64 v[22:23], v23
	v_div_scale_f64 v[54:55], vcc, v[50:51], v[24:25], v[50:51]
	v_fma_f64 v[56:57], -v[44:45], v[52:53], 1.0
	v_fmac_f64_e32 v[52:53], v[52:53], v[56:57]
	v_fma_f64 v[56:57], -v[44:45], v[52:53], 1.0
	v_fmac_f64_e32 v[52:53], v[52:53], v[56:57]
	v_mul_f64 v[56:57], v[54:55], v[52:53]
	v_fma_f64 v[44:45], -v[44:45], v[56:57], v[54:55]
	v_div_fmas_f64 v[44:45], v[44:45], v[52:53], v[56:57]
	v_div_fixup_f64 v[24:25], v[44:45], v[24:25], v[50:51]
	s_waitcnt lgkmcnt(0)
	v_add_f64 v[22:23], v[22:23], -v[82:83]
	v_fmac_f64_e32 v[82:83], v[24:25], v[22:23]
	v_add_u32_e32 v22, -8, v47
	s_mov_b64 s[22:23], exec
	ds_write_b64 v22, v[82:83]
	v_mov_b32_e32 v22, v20
.LBB2_406:                              ;   in Loop: Header=BB2_401 Depth=2
	s_or_b64 exec, exec, s[26:27]
	s_and_b64 s[22:23], s[22:23], exec
                                        ; implicit-def: $vgpr44_vgpr45
                                        ; implicit-def: $vgpr23
	s_andn2_saveexec_b64 s[24:25], s[24:25]
	s_cbranch_execz .LBB2_403
.LBB2_407:                              ;   in Loop: Header=BB2_401 Depth=2
	ds_read_b64 v[46:47], v48 offset:80
	s_mov_b64 s[28:29], s[22:23]
                                        ; implicit-def: $vgpr24_vgpr25
	s_waitcnt lgkmcnt(0)
	v_cmp_ge_f64_e32 vcc, v[46:47], v[34:35]
	s_and_saveexec_b64 s[26:27], vcc
	s_cbranch_execz .LBB2_409
; %bb.408:                              ;   in Loop: Header=BB2_401 Depth=2
	v_add_f64 v[24:25], v[46:47], -v[44:45]
	v_add_f64 v[44:45], v[34:35], -v[44:45]
	v_div_scale_f64 v[46:47], s[28:29], v[24:25], v[24:25], v[44:45]
	v_rcp_f64_e32 v[50:51], v[46:47]
	v_lshl_add_u32 v81, v43, 3, v58
	ds_write_b64 v81, v[34:35] offset:160
	v_add_u32_e32 v49, 0xffffffb0, v48
	v_fma_f64 v[52:53], -v[46:47], v[50:51], 1.0
	v_fmac_f64_e32 v[50:51], v[50:51], v[52:53]
	v_fma_f64 v[52:53], -v[46:47], v[50:51], 1.0
	ds_read_b64 v[56:57], v23
	ds_read_b64 v[82:83], v49
	v_fmac_f64_e32 v[50:51], v[50:51], v[52:53]
	v_div_scale_f64 v[52:53], vcc, v[44:45], v[24:25], v[44:45]
	v_mul_f64 v[54:55], v[52:53], v[50:51]
	v_fma_f64 v[46:47], -v[46:47], v[54:55], v[52:53]
	s_or_b64 s[28:29], s[22:23], exec
	s_nop 0
	v_div_fmas_f64 v[46:47], v[46:47], v[50:51], v[54:55]
	v_div_fixup_f64 v[24:25], v[46:47], v[24:25], v[44:45]
	s_waitcnt lgkmcnt(0)
	v_add_f64 v[44:45], v[82:83], -v[56:57]
	v_fmac_f64_e32 v[56:57], v[24:25], v[44:45]
	ds_write_b64 v81, v[56:57]
.LBB2_409:                              ;   in Loop: Header=BB2_401 Depth=2
	s_or_b64 exec, exec, s[26:27]
	s_andn2_b64 s[22:23], s[22:23], exec
	s_and_b64 s[26:27], s[28:29], exec
	s_or_b64 s[22:23], s[22:23], s[26:27]
	v_mov_b32_e32 v46, v48
	s_or_b64 exec, exec, s[24:25]
	s_and_saveexec_b64 s[24:25], s[22:23]
	s_cbranch_execz .LBB2_400
.LBB2_410:                              ;   in Loop: Header=BB2_401 Depth=2
	v_lshl_add_u32 v44, v22, 3, v68
	ds_read_b64 v[22:23], v46
	ds_read_b64 v[44:45], v44
	v_lshl_add_u32 v46, v43, 3, v68
	v_add_u32_e32 v43, -1, v43
	s_waitcnt lgkmcnt(0)
	v_add_f64 v[22:23], v[22:23], -v[44:45]
	v_fmac_f64_e32 v[44:45], v[24:25], v[22:23]
	ds_write_b64 v46, v[44:45]
	s_branch .LBB2_400
.LBB2_411:                              ;   in Loop: Header=BB2_293 Depth=1
	s_or_b64 exec, exec, s[20:21]
	s_or_b64 exec, exec, s[18:19]
	v_cmp_gt_i32_e32 vcc, 7, v43
	s_and_saveexec_b64 s[18:19], vcc
	s_cbranch_execz .LBB2_398
.LBB2_412:                              ;   in Loop: Header=BB2_293 Depth=1
	v_sub_u32_e32 v54, 9, v43
	v_mov_b32_e32 v55, v42
	v_lshlrev_b32_e32 v81, 3, v43
	v_add_u32_e32 v20, v70, v81
	s_mov_b64 s[20:21], 0
	v_pk_mov_b32 v[18:19], v[54:55], v[54:55] op_sel:[0,1]
.LBB2_413:                              ;   Parent Loop BB2_293 Depth=1
                                        ; =>  This Inner Loop Header: Depth=2
	v_add_co_u32_e32 v18, vcc, -1, v18
	v_addc_co_u32_e32 v19, vcc, -1, v19, vcc
	v_cmp_eq_u64_e32 vcc, 0, v[18:19]
	ds_write_b64 v20, v[34:35]
	s_or_b64 s[20:21], vcc, s[20:21]
	v_add_u32_e32 v20, 8, v20
	s_andn2_b64 exec, exec, s[20:21]
	s_cbranch_execnz .LBB2_413
; %bb.414:                              ;   in Loop: Header=BB2_293 Depth=1
	s_or_b64 exec, exec, s[20:21]
	v_pk_mov_b32 v[44:45], 0, 0
	v_cmp_lt_u32_e32 vcc, 2, v54
	v_pk_mov_b32 v[46:47], v[44:45], v[44:45] op_sel:[0,1]
	v_pk_mov_b32 v[50:51], v[44:45], v[44:45] op_sel:[0,1]
	;; [unrolled: 1-line block ×3, first 2 shown]
	s_and_saveexec_b64 s[20:21], vcc
	s_cbranch_execz .LBB2_418
; %bb.415:                              ;   in Loop: Header=BB2_293 Depth=1
	v_lshl_add_u32 v43, v43, 3, v68
	v_add_u32_e32 v44, 0xffffffb8, v43
	ds_read2_b64 v[18:21], v43 offset0:1 offset1:2
	ds_read2_b64 v[22:25], v43 offset0:11 offset1:12
	v_subrev_u32_e32 v43, 64, v43
	ds_read_b64 v[52:53], v44
	ds_read_b64 v[56:57], v43
	v_add_co_u32_e32 v54, vcc, -2, v54
	v_addc_co_u32_e64 v55, s[22:23], 0, -1, vcc
	v_pk_mov_b32 v[48:49], 0, 0
	v_add_u32_e32 v43, v76, v81
	s_mov_b64 s[22:23], 0
	v_pk_mov_b32 v[50:51], v[48:49], v[48:49] op_sel:[0,1]
	v_pk_mov_b32 v[46:47], v[48:49], v[48:49] op_sel:[0,1]
	;; [unrolled: 1-line block ×3, first 2 shown]
.LBB2_416:                              ;   Parent Loop BB2_293 Depth=1
                                        ; =>  This Inner Loop Header: Depth=2
	ds_read2_b64 v[82:85], v43 offset1:10
	ds_read_b64 v[86:87], v43 offset:160
	s_waitcnt lgkmcnt(4)
	v_add_f64 v[88:89], v[22:23], v[24:25]
	s_waitcnt lgkmcnt(2)
	v_add_f64 v[90:91], v[52:53], v[56:57]
	v_add_f64 v[92:93], v[18:19], v[20:21]
	v_mul_f64 v[96:97], v[88:89], 0.5
	v_fma_f64 v[90:91], v[36:37], v[90:91], v[0:1]
	v_fma_f64 v[98:99], v[38:39], v[92:93], v[8:9]
	v_fma_f64 v[100:101], 0.5, v[96:97], v[4:5]
	s_waitcnt lgkmcnt(1)
	v_add_f64 v[104:105], v[20:21], v[84:85]
	v_add_f64 v[112:113], v[56:57], -v[82:83]
	v_add_f64 v[94:95], v[52:53], -v[56:57]
	v_fma_f64 v[90:91], v[90:91], v[96:97], 0
	v_fma_f64 v[98:99], v[96:97], v[98:99], 0
	;; [unrolled: 1-line block ×3, first 2 shown]
	s_waitcnt lgkmcnt(0)
	v_add_f64 v[100:101], v[24:25], v[86:87]
	v_add_f64 v[102:103], v[56:57], v[82:83]
	;; [unrolled: 1-line block ×3, first 2 shown]
	v_pk_mov_b32 v[24:25], v[86:87], v[86:87] op_sel:[0,1]
	v_fma_f64 v[86:87], v[38:39], v[104:105], v[8:9]
	v_mul_f64 v[104:105], v[112:113], v[104:105]
	v_fma_f64 v[88:89], v[88:89], 0.5, 0
	v_add_f64 v[108:109], v[52:53], v[82:83]
	v_add_f64 v[110:111], v[18:19], v[84:85]
	v_add_f64 v[114:115], v[82:83], -v[52:53]
	v_pk_mov_b32 v[56:57], v[82:83], v[82:83] op_sel:[0,1]
	v_pk_mov_b32 v[20:21], v[84:85], v[84:85] op_sel:[0,1]
	v_mul_f64 v[82:83], v[100:101], 0.5
	v_fma_f64 v[84:85], v[36:37], v[102:103], v[0:1]
	v_fmac_f64_e32 v[104:105], v[94:95], v[92:93]
	v_add_co_u32_e32 v54, vcc, -1, v54
	v_fmac_f64_e32 v[88:89], 0.5, v[100:101]
	v_mul_f64 v[100:101], v[106:107], 0.5
	v_fmac_f64_e32 v[90:91], v[84:85], v[82:83]
	v_fma_f64 v[84:85], 0.5, v[82:83], v[4:5]
	v_fmac_f64_e32 v[104:105], v[114:115], v[110:111]
	v_addc_co_u32_e32 v55, vcc, -1, v55, vcc
	v_fma_f64 v[102:103], v[36:37], v[108:109], v[0:1]
	v_fma_f64 v[108:109], v[38:39], v[110:111], v[8:9]
	v_fmac_f64_e32 v[98:99], v[82:83], v[86:87]
	v_fma_f64 v[86:87], 0.5, v[100:101], v[4:5]
	v_fmac_f64_e32 v[96:97], v[82:83], v[84:85]
	v_mul_f64 v[82:83], v[104:105], 0.5
	v_cmp_eq_u64_e32 vcc, 0, v[54:55]
	v_fmac_f64_e32 v[88:89], 0.5, v[106:107]
	v_fmac_f64_e32 v[90:91], v[102:103], v[100:101]
	v_fmac_f64_e32 v[98:99], v[100:101], v[108:109]
	;; [unrolled: 1-line block ×3, first 2 shown]
	v_mul_f64 v[82:83], v[82:83], s[14:15]
	v_add_u32_e32 v43, 8, v43
	s_or_b64 s[22:23], vcc, s[22:23]
	v_fmac_f64_e32 v[48:49], v[88:89], v[82:83]
	v_fmac_f64_e32 v[50:51], v[82:83], v[90:91]
	;; [unrolled: 1-line block ×4, first 2 shown]
	s_andn2_b64 exec, exec, s[22:23]
	s_cbranch_execnz .LBB2_416
; %bb.417:                              ;   in Loop: Header=BB2_293 Depth=1
	s_or_b64 exec, exec, s[22:23]
.LBB2_418:                              ;   in Loop: Header=BB2_293 Depth=1
	s_or_b64 exec, exec, s[20:21]
	v_fmac_f64_e32 v[14:15], v[2:3], v[48:49]
	v_fmac_f64_e32 v[16:17], v[2:3], v[50:51]
	;; [unrolled: 1-line block ×4, first 2 shown]
	s_or_b64 exec, exec, s[18:19]
	s_and_saveexec_b64 s[18:19], s[4:5]
	s_cbranch_execz .LBB2_421
.LBB2_419:                              ;   in Loop: Header=BB2_293 Depth=1
	v_mov_b32_e32 v20, 48
	s_mov_b64 s[4:5], 0
	v_mov_b32_e32 v21, v58
	v_pk_mov_b32 v[18:19], v[26:27], v[26:27] op_sel:[0,1]
.LBB2_420:                              ;   Parent Loop BB2_293 Depth=1
                                        ; =>  This Inner Loop Header: Depth=2
	buffer_load_dword v22, v20, s[0:3], 0 offen
	buffer_load_dword v23, v20, s[0:3], 0 offen offset:4
	buffer_load_dword v24, v20, s[0:3], 0 offen offset:128
	;; [unrolled: 1-line block ×5, first 2 shown]
	v_add_co_u32_e32 v18, vcc, -1, v18
	v_addc_co_u32_e32 v19, vcc, -1, v19, vcc
	v_cmp_eq_u64_e32 vcc, 0, v[18:19]
	v_add_u32_e32 v20, 8, v20
	s_or_b64 s[4:5], vcc, s[4:5]
	s_waitcnt vmcnt(1)
	ds_write2_b64 v21, v[22:23], v[44:45] offset1:10
	s_waitcnt vmcnt(0)
	ds_write_b64 v21, v[24:25] offset:160
	v_add_u32_e32 v21, 8, v21
	s_andn2_b64 exec, exec, s[4:5]
	s_cbranch_execnz .LBB2_420
.LBB2_421:                              ;   in Loop: Header=BB2_293 Depth=1
	s_or_b64 exec, exec, s[18:19]
	v_mov_b32_e32 v20, 0
	s_and_saveexec_b64 s[4:5], s[6:7]
	s_cbranch_execz .LBB2_435
; %bb.422:                              ;   in Loop: Header=BB2_293 Depth=1
	v_add_co_u32_e32 v18, vcc, 1, v28
	v_pk_mov_b32 v[20:21], 0, 0
	v_lshl_add_u32 v43, v26, 3, v77
	v_addc_co_u32_e32 v19, vcc, 0, v29, vcc
	s_mov_b64 s[6:7], 0
	v_mov_b32_e32 v21, 9
	s_branch .LBB2_424
.LBB2_423:                              ;   in Loop: Header=BB2_424 Depth=2
	s_or_b64 exec, exec, s[20:21]
	v_add_co_u32_e32 v22, vcc, -1, v28
	v_addc_co_u32_e32 v23, vcc, -1, v29, vcc
	v_add_co_u32_e32 v18, vcc, -1, v18
	v_addc_co_u32_e32 v19, vcc, -1, v19, vcc
	v_cmp_eq_u64_e32 vcc, 0, v[18:19]
	v_pk_mov_b32 v[20:21], v[28:29], v[28:29] op_sel:[0,1]
	v_add_u32_e32 v43, -8, v43
	s_or_b64 s[6:7], vcc, s[6:7]
	v_mov_b32_e32 v21, v26
	v_pk_mov_b32 v[28:29], v[22:23], v[22:23] op_sel:[0,1]
	s_andn2_b64 exec, exec, s[6:7]
	s_cbranch_execz .LBB2_434
.LBB2_424:                              ;   Parent Loop BB2_293 Depth=1
                                        ; =>  This Inner Loop Header: Depth=2
	v_lshl_add_u32 v45, v20, 3, v58
	ds_read_b64 v[24:25], v45 offset:160
	s_mov_b64 s[18:19], 0
                                        ; implicit-def: $sgpr24
                                        ; implicit-def: $vgpr26
                                        ; implicit-def: $vgpr22_vgpr23
                                        ; implicit-def: $vgpr44
	s_waitcnt lgkmcnt(0)
	v_cmp_nlt_f64_e32 vcc, v[24:25], v[34:35]
	s_and_saveexec_b64 s[20:21], vcc
	s_xor_b64 s[20:21], exec, s[20:21]
	s_cbranch_execnz .LBB2_427
; %bb.425:                              ;   in Loop: Header=BB2_424 Depth=2
	s_or_saveexec_b64 s[20:21], s[20:21]
	v_mov_b32_e32 v27, s24
	s_xor_b64 exec, exec, s[20:21]
	s_cbranch_execnz .LBB2_430
.LBB2_426:                              ;   in Loop: Header=BB2_424 Depth=2
	s_or_b64 exec, exec, s[20:21]
	s_and_saveexec_b64 s[20:21], s[18:19]
	s_cbranch_execz .LBB2_423
	s_branch .LBB2_433
.LBB2_427:                              ;   in Loop: Header=BB2_424 Depth=2
	ds_read_b64 v[26:27], v43 offset:160
                                        ; implicit-def: $sgpr24
                                        ; implicit-def: $vgpr22_vgpr23
                                        ; implicit-def: $vgpr44
	s_waitcnt lgkmcnt(0)
	v_cmp_lt_f64_e32 vcc, v[26:27], v[34:35]
	s_and_saveexec_b64 s[22:23], vcc
	s_xor_b64 s[22:23], exec, s[22:23]
	s_cbranch_execz .LBB2_429
; %bb.428:                              ;   in Loop: Header=BB2_424 Depth=2
	v_add_f64 v[22:23], v[24:25], -v[26:27]
	v_add_f64 v[24:25], v[34:35], -v[26:27]
	v_div_scale_f64 v[26:27], s[24:25], v[22:23], v[22:23], v[24:25]
	v_rcp_f64_e32 v[46:47], v[26:27]
	v_lshl_add_u32 v54, v21, 3, v58
	ds_write_b64 v54, v[34:35] offset:160
	ds_read_b64 v[52:53], v43
	ds_read_b64 v[44:45], v45
	v_fma_f64 v[48:49], -v[26:27], v[46:47], 1.0
	v_fmac_f64_e32 v[46:47], v[46:47], v[48:49]
	v_fma_f64 v[48:49], -v[26:27], v[46:47], 1.0
	v_fmac_f64_e32 v[46:47], v[46:47], v[48:49]
	v_div_scale_f64 v[48:49], vcc, v[24:25], v[22:23], v[24:25]
	v_mul_f64 v[50:51], v[48:49], v[46:47]
	v_fma_f64 v[26:27], -v[26:27], v[50:51], v[48:49]
	s_mov_b64 s[18:19], exec
	s_nop 0
	v_div_fmas_f64 v[26:27], v[26:27], v[46:47], v[50:51]
	v_div_fixup_f64 v[22:23], v[26:27], v[22:23], v[24:25]
	s_waitcnt lgkmcnt(0)
	v_add_f64 v[24:25], v[44:45], -v[52:53]
	v_fmac_f64_e32 v[52:53], v[22:23], v[24:25]
	v_add_u32_e32 v44, 0x50, v43
	s_mov_b32 s24, -1
	ds_write_b64 v54, v[52:53]
.LBB2_429:                              ;   in Loop: Header=BB2_424 Depth=2
	s_or_b64 exec, exec, s[22:23]
	s_and_b64 s[18:19], s[18:19], exec
	v_mov_b32_e32 v26, v21
                                        ; implicit-def: $vgpr24_vgpr25
                                        ; implicit-def: $vgpr45
	s_or_saveexec_b64 s[20:21], s[20:21]
	v_mov_b32_e32 v27, s24
	s_xor_b64 exec, exec, s[20:21]
	s_cbranch_execz .LBB2_426
.LBB2_430:                              ;   in Loop: Header=BB2_424 Depth=2
	v_lshl_add_u32 v27, v21, 3, v58
	ds_write_b64 v27, v[24:25] offset:160
	ds_read_b64 v[22:23], v45
	v_add_u32_e32 v26, -1, v21
	s_mov_b64 s[24:25], s[18:19]
                                        ; implicit-def: $sgpr26
                                        ; implicit-def: $vgpr44
                                        ; implicit-def: $vgpr20
	s_waitcnt lgkmcnt(0)
	ds_write_b64 v27, v[22:23]
	ds_read_b64 v[22:23], v45 offset:80
	s_waitcnt lgkmcnt(0)
	ds_write_b64 v27, v[22:23] offset:80
	ds_read_b64 v[24:25], v43 offset:160
                                        ; implicit-def: $vgpr22_vgpr23
	s_waitcnt lgkmcnt(0)
	v_cmp_ge_f64_e32 vcc, v[24:25], v[34:35]
	s_and_saveexec_b64 s[22:23], vcc
	s_cbranch_execz .LBB2_432
; %bb.431:                              ;   in Loop: Header=BB2_424 Depth=2
	ds_read_b64 v[22:23], v45 offset:160
	ds_write_b64 v27, v[34:35] offset:152
	ds_read_b64 v[50:51], v45
	ds_read_b64 v[56:57], v43
	v_add_u32_e32 v20, -8, v27
	s_waitcnt lgkmcnt(3)
	v_add_f64 v[24:25], v[24:25], -v[22:23]
	v_add_f64 v[22:23], v[34:35], -v[22:23]
	v_div_scale_f64 v[46:47], s[24:25], v[24:25], v[24:25], v[22:23]
	v_rcp_f64_e32 v[48:49], v[46:47]
	v_div_scale_f64 v[52:53], vcc, v[22:23], v[24:25], v[22:23]
	v_add_u32_e32 v44, 0x50, v45
	v_fma_f64 v[54:55], -v[46:47], v[48:49], 1.0
	v_fmac_f64_e32 v[48:49], v[48:49], v[54:55]
	v_fma_f64 v[54:55], -v[46:47], v[48:49], 1.0
	v_fmac_f64_e32 v[48:49], v[48:49], v[54:55]
	v_mul_f64 v[54:55], v[52:53], v[48:49]
	v_fma_f64 v[46:47], -v[46:47], v[54:55], v[52:53]
	v_div_fmas_f64 v[46:47], v[46:47], v[48:49], v[54:55]
	v_div_fixup_f64 v[22:23], v[46:47], v[24:25], v[22:23]
	s_waitcnt lgkmcnt(0)
	v_add_f64 v[24:25], v[56:57], -v[50:51]
	v_fmac_f64_e32 v[50:51], v[22:23], v[24:25]
	ds_write_b64 v20, v[50:51]
	s_mov_b32 s26, -2
	s_or_b64 s[24:25], s[18:19], exec
	v_mov_b32_e32 v20, v28
.LBB2_432:                              ;   in Loop: Header=BB2_424 Depth=2
	s_or_b64 exec, exec, s[22:23]
	s_andn2_b64 s[18:19], s[18:19], exec
	s_and_b64 s[22:23], s[24:25], exec
	v_mov_b32_e32 v27, s26
	s_or_b64 s[18:19], s[18:19], s[22:23]
	s_or_b64 exec, exec, s[20:21]
	s_and_saveexec_b64 s[20:21], s[18:19]
	s_cbranch_execz .LBB2_423
.LBB2_433:                              ;   in Loop: Header=BB2_424 Depth=2
	v_lshl_add_u32 v20, v20, 3, v68
	ds_read_b64 v[24:25], v44
	ds_read_b64 v[44:45], v20
	v_lshl_add_u32 v20, v26, 3, v68
	v_add_u32_e32 v26, v27, v21
	s_waitcnt lgkmcnt(0)
	v_add_f64 v[44:45], v[44:45], -v[24:25]
	v_fmac_f64_e32 v[24:25], v[22:23], v[44:45]
	ds_write_b64 v20, v[24:25]
	s_branch .LBB2_423
.LBB2_434:                              ;   in Loop: Header=BB2_293 Depth=1
	s_or_b64 exec, exec, s[6:7]
	v_add_u32_e32 v20, -9, v26
.LBB2_435:                              ;   in Loop: Header=BB2_293 Depth=1
	s_or_b64 exec, exec, s[4:5]
	v_cmp_ne_u32_e32 vcc, 0, v20
	v_mov_b32_e32 v45, 0
	s_and_saveexec_b64 s[4:5], vcc
	s_cbranch_execz .LBB2_449
; %bb.436:                              ;   in Loop: Header=BB2_293 Depth=1
	v_add_u32_e32 v18, 10, v20
	v_ashrrev_i32_e32 v19, 31, v18
	v_lshl_add_u32 v44, v20, 3, v68
	v_add_co_u32_e32 v20, vcc, -10, v18
	v_addc_co_u32_e32 v21, vcc, -1, v19, vcc
	s_mov_b64 s[6:7], 0
	v_mov_b32_e32 v22, 9
	v_mov_b32_e32 v45, 0
	;; [unrolled: 1-line block ×3, first 2 shown]
	s_branch .LBB2_438
.LBB2_437:                              ;   in Loop: Header=BB2_438 Depth=2
	s_or_b64 exec, exec, s[20:21]
	v_add_co_u32_e32 v24, vcc, 1, v18
	v_addc_co_u32_e32 v25, vcc, 0, v19, vcc
	v_add_co_u32_e32 v20, vcc, 1, v20
	v_addc_co_u32_e32 v21, vcc, 0, v21, vcc
	v_cmp_eq_u64_e32 vcc, 0, v[20:21]
	v_add_u32_e32 v44, 8, v44
	s_or_b64 s[6:7], vcc, s[6:7]
	v_pk_mov_b32 v[22:23], v[18:19], v[18:19] op_sel:[0,1]
	v_pk_mov_b32 v[18:19], v[24:25], v[24:25] op_sel:[0,1]
	s_andn2_b64 exec, exec, s[6:7]
	s_cbranch_execz .LBB2_448
.LBB2_438:                              ;   Parent Loop BB2_293 Depth=1
                                        ; =>  This Inner Loop Header: Depth=2
	v_lshl_add_u32 v46, v22, 3, v58
	ds_read_b64 v[26:27], v46 offset:160
	s_mov_b64 s[18:19], 0
                                        ; implicit-def: $vgpr28
                                        ; implicit-def: $vgpr24_vgpr25
                                        ; implicit-def: $vgpr23
	s_waitcnt lgkmcnt(0)
	v_cmp_le_f64_e32 vcc, 0, v[26:27]
	s_and_saveexec_b64 s[20:21], vcc
	s_xor_b64 s[20:21], exec, s[20:21]
	s_cbranch_execnz .LBB2_441
; %bb.439:                              ;   in Loop: Header=BB2_438 Depth=2
	s_andn2_saveexec_b64 s[20:21], s[20:21]
	s_cbranch_execnz .LBB2_444
.LBB2_440:                              ;   in Loop: Header=BB2_438 Depth=2
	s_or_b64 exec, exec, s[20:21]
	s_and_saveexec_b64 s[20:21], s[18:19]
	s_cbranch_execz .LBB2_437
	s_branch .LBB2_447
.LBB2_441:                              ;   in Loop: Header=BB2_438 Depth=2
	v_lshl_add_u32 v29, v45, 3, v58
	ds_write_b64 v29, v[26:27] offset:160
	ds_read_b64 v[22:23], v46
	v_add_u32_e32 v28, 1, v45
                                        ; implicit-def: $vgpr24_vgpr25
	s_waitcnt lgkmcnt(0)
	ds_write_b64 v29, v[22:23]
	ds_read_b64 v[22:23], v46 offset:80
	s_waitcnt lgkmcnt(0)
	ds_write_b64 v29, v[22:23] offset:80
	ds_read_b64 v[26:27], v44 offset:160
                                        ; implicit-def: $vgpr23
                                        ; implicit-def: $vgpr22
	s_waitcnt lgkmcnt(0)
	v_cmp_gt_f64_e32 vcc, 0, v[26:27]
	s_and_saveexec_b64 s[22:23], vcc
	s_cbranch_execz .LBB2_443
; %bb.442:                              ;   in Loop: Header=BB2_438 Depth=2
	ds_read_b64 v[24:25], v46 offset:160
	v_add_f64 v[48:49], -v[26:27], 0
	v_lshl_add_u32 v22, v45, 3, v70
	v_mov_b32_e32 v43, v42
	ds_write_b64 v22, v[42:43]
	s_waitcnt lgkmcnt(1)
	v_add_f64 v[24:25], v[24:25], -v[26:27]
	v_div_scale_f64 v[26:27], s[24:25], v[24:25], v[24:25], v[48:49]
	v_rcp_f64_e32 v[50:51], v[26:27]
	v_add_u32_e32 v23, 0x50, v46
	ds_read_b64 v[56:57], v44
	ds_read_b64 v[46:47], v46
	v_div_scale_f64 v[52:53], vcc, v[48:49], v[24:25], v[48:49]
	v_fma_f64 v[54:55], -v[26:27], v[50:51], 1.0
	v_fmac_f64_e32 v[50:51], v[50:51], v[54:55]
	v_fma_f64 v[54:55], -v[26:27], v[50:51], 1.0
	v_fmac_f64_e32 v[50:51], v[50:51], v[54:55]
	v_mul_f64 v[54:55], v[52:53], v[50:51]
	v_fma_f64 v[26:27], -v[26:27], v[54:55], v[52:53]
	v_div_fmas_f64 v[26:27], v[26:27], v[50:51], v[54:55]
	v_div_fixup_f64 v[24:25], v[26:27], v[24:25], v[48:49]
	s_waitcnt lgkmcnt(0)
	v_add_f64 v[26:27], v[46:47], -v[56:57]
	s_mov_b64 s[18:19], exec
	v_fmac_f64_e32 v[56:57], v[24:25], v[26:27]
	v_mov_b32_e32 v22, v18
	ds_write_b64 v29, v[56:57] offset:8
.LBB2_443:                              ;   in Loop: Header=BB2_438 Depth=2
	s_or_b64 exec, exec, s[22:23]
	s_and_b64 s[18:19], s[18:19], exec
	v_mov_b32_e32 v45, v28
                                        ; implicit-def: $vgpr26_vgpr27
                                        ; implicit-def: $vgpr46
	s_andn2_saveexec_b64 s[20:21], s[20:21]
	s_cbranch_execz .LBB2_440
.LBB2_444:                              ;   in Loop: Header=BB2_438 Depth=2
	ds_read_b64 v[28:29], v44 offset:160
	s_mov_b64 s[24:25], s[18:19]
                                        ; implicit-def: $vgpr24_vgpr25
                                        ; implicit-def: $vgpr23
	s_waitcnt lgkmcnt(0)
	v_cmp_le_f64_e32 vcc, 0, v[28:29]
	s_and_saveexec_b64 s[22:23], vcc
	s_cbranch_execz .LBB2_446
; %bb.445:                              ;   in Loop: Header=BB2_438 Depth=2
	v_add_f64 v[24:25], v[28:29], -v[26:27]
	v_add_f64 v[26:27], -v[26:27], 0
	v_div_scale_f64 v[28:29], s[24:25], v[24:25], v[24:25], v[26:27]
	v_rcp_f64_e32 v[48:49], v[28:29]
	v_lshl_add_u32 v23, v45, 3, v58
	v_mov_b32_e32 v43, v42
	ds_write_b64 v23, v[42:43] offset:160
	v_fma_f64 v[50:51], -v[28:29], v[48:49], 1.0
	v_fmac_f64_e32 v[48:49], v[48:49], v[50:51]
	v_fma_f64 v[50:51], -v[28:29], v[48:49], 1.0
	ds_read_b64 v[46:47], v46
	ds_read_b64 v[54:55], v44
	v_fmac_f64_e32 v[48:49], v[48:49], v[50:51]
	v_div_scale_f64 v[50:51], vcc, v[26:27], v[24:25], v[26:27]
	v_mul_f64 v[52:53], v[50:51], v[48:49]
	v_fma_f64 v[28:29], -v[28:29], v[52:53], v[50:51]
	s_or_b64 s[24:25], s[18:19], exec
	s_nop 0
	v_div_fmas_f64 v[28:29], v[28:29], v[48:49], v[52:53]
	v_div_fixup_f64 v[24:25], v[28:29], v[24:25], v[26:27]
	s_waitcnt lgkmcnt(0)
	v_add_f64 v[26:27], v[54:55], -v[46:47]
	v_fmac_f64_e32 v[46:47], v[24:25], v[26:27]
	ds_write_b64 v23, v[46:47]
	v_add_u32_e32 v23, 0x50, v44
.LBB2_446:                              ;   in Loop: Header=BB2_438 Depth=2
	s_or_b64 exec, exec, s[22:23]
	s_andn2_b64 s[18:19], s[18:19], exec
	s_and_b64 s[22:23], s[24:25], exec
	s_or_b64 s[18:19], s[18:19], s[22:23]
	v_mov_b32_e32 v28, v45
	s_or_b64 exec, exec, s[20:21]
	s_and_saveexec_b64 s[20:21], s[18:19]
	s_cbranch_execz .LBB2_437
.LBB2_447:                              ;   in Loop: Header=BB2_438 Depth=2
	v_lshl_add_u32 v26, v22, 3, v68
	ds_read_b64 v[22:23], v23
	ds_read_b64 v[26:27], v26
	v_lshl_add_u32 v29, v28, 3, v68
	v_add_u32_e32 v45, 1, v28
	s_waitcnt lgkmcnt(0)
	v_add_f64 v[22:23], v[22:23], -v[26:27]
	v_fmac_f64_e32 v[26:27], v[24:25], v[22:23]
	ds_write_b64 v29, v[26:27]
	s_branch .LBB2_437
.LBB2_448:                              ;   in Loop: Header=BB2_293 Depth=1
	s_or_b64 exec, exec, s[6:7]
.LBB2_449:                              ;   in Loop: Header=BB2_293 Depth=1
	s_or_b64 exec, exec, s[4:5]
	v_cmp_lt_i32_e32 vcc, 2, v45
	s_and_saveexec_b64 s[4:5], vcc
	s_cbranch_execz .LBB2_292
; %bb.450:                              ;   in Loop: Header=BB2_293 Depth=1
	ds_read2_b64 v[18:21], v58 offset1:1
	ds_read2_b64 v[22:25], v58 offset0:10 offset1:11
	ds_read2_b64 v[26:29], v58 offset0:20 offset1:21
	v_add_co_u32_e32 v44, vcc, -2, v45
	v_addc_co_u32_e64 v45, s[6:7], 0, -1, vcc
	v_pk_mov_b32 v[46:47], 0, 0
	s_mov_b64 s[6:7], 0
	v_mov_b32_e32 v43, v78
	v_pk_mov_b32 v[52:53], v[46:47], v[46:47] op_sel:[0,1]
	v_pk_mov_b32 v[50:51], v[46:47], v[46:47] op_sel:[0,1]
	;; [unrolled: 1-line block ×3, first 2 shown]
.LBB2_451:                              ;   Parent Loop BB2_293 Depth=1
                                        ; =>  This Inner Loop Header: Depth=2
	ds_read2_b64 v[54:57], v43 offset1:10
	ds_read_b64 v[82:83], v43 offset:160
	s_waitcnt lgkmcnt(2)
	v_add_f64 v[84:85], v[26:27], v[28:29]
	v_add_f64 v[86:87], v[18:19], v[20:21]
	v_add_f64 v[88:89], v[22:23], v[24:25]
	v_mul_f64 v[92:93], v[84:85], 0.5
	v_fma_f64 v[86:87], v[36:37], v[86:87], v[0:1]
	v_fma_f64 v[94:95], v[38:39], v[88:89], v[8:9]
	v_fma_f64 v[96:97], 0.5, v[92:93], v[4:5]
	s_waitcnt lgkmcnt(1)
	v_add_f64 v[100:101], v[24:25], v[56:57]
	v_add_f64 v[108:109], v[20:21], -v[54:55]
	v_add_f64 v[90:91], v[18:19], -v[20:21]
	v_fma_f64 v[86:87], v[86:87], v[92:93], 0
	v_fma_f64 v[94:95], v[92:93], v[94:95], 0
	;; [unrolled: 1-line block ×3, first 2 shown]
	s_waitcnt lgkmcnt(0)
	v_add_f64 v[96:97], v[28:29], v[82:83]
	v_add_f64 v[98:99], v[20:21], v[54:55]
	;; [unrolled: 1-line block ×3, first 2 shown]
	v_pk_mov_b32 v[28:29], v[82:83], v[82:83] op_sel:[0,1]
	v_fma_f64 v[82:83], v[38:39], v[100:101], v[8:9]
	v_mul_f64 v[100:101], v[108:109], v[100:101]
	v_fma_f64 v[84:85], v[84:85], 0.5, 0
	v_add_f64 v[104:105], v[18:19], v[54:55]
	v_add_f64 v[106:107], v[22:23], v[56:57]
	v_add_f64 v[110:111], v[54:55], -v[18:19]
	v_pk_mov_b32 v[20:21], v[54:55], v[54:55] op_sel:[0,1]
	v_pk_mov_b32 v[24:25], v[56:57], v[56:57] op_sel:[0,1]
	v_mul_f64 v[54:55], v[96:97], 0.5
	v_fma_f64 v[56:57], v[36:37], v[98:99], v[0:1]
	v_fmac_f64_e32 v[100:101], v[90:91], v[88:89]
	v_add_co_u32_e32 v44, vcc, -1, v44
	v_fmac_f64_e32 v[84:85], 0.5, v[96:97]
	v_mul_f64 v[96:97], v[102:103], 0.5
	v_fmac_f64_e32 v[86:87], v[56:57], v[54:55]
	v_fma_f64 v[56:57], 0.5, v[54:55], v[4:5]
	v_fmac_f64_e32 v[100:101], v[110:111], v[106:107]
	v_addc_co_u32_e32 v45, vcc, -1, v45, vcc
	v_fma_f64 v[98:99], v[36:37], v[104:105], v[0:1]
	v_fma_f64 v[104:105], v[38:39], v[106:107], v[8:9]
	v_fmac_f64_e32 v[94:95], v[54:55], v[82:83]
	v_fma_f64 v[82:83], 0.5, v[96:97], v[4:5]
	v_fmac_f64_e32 v[92:93], v[54:55], v[56:57]
	v_mul_f64 v[54:55], v[100:101], 0.5
	v_cmp_eq_u64_e32 vcc, 0, v[44:45]
	v_fmac_f64_e32 v[84:85], 0.5, v[102:103]
	v_fmac_f64_e32 v[86:87], v[98:99], v[96:97]
	v_fmac_f64_e32 v[94:95], v[96:97], v[104:105]
	;; [unrolled: 1-line block ×3, first 2 shown]
	v_mul_f64 v[54:55], v[54:55], s[14:15]
	v_add_u32_e32 v43, 8, v43
	s_or_b64 s[6:7], vcc, s[6:7]
	v_fmac_f64_e32 v[46:47], v[84:85], v[54:55]
	v_fmac_f64_e32 v[52:53], v[54:55], v[86:87]
	;; [unrolled: 1-line block ×4, first 2 shown]
	s_andn2_b64 exec, exec, s[6:7]
	s_cbranch_execnz .LBB2_451
; %bb.452:                              ;   in Loop: Header=BB2_293 Depth=1
	s_or_b64 exec, exec, s[6:7]
	v_fmac_f64_e32 v[14:15], v[2:3], v[46:47]
	v_fmac_f64_e32 v[16:17], v[2:3], v[52:53]
	;; [unrolled: 1-line block ×4, first 2 shown]
	s_branch .LBB2_292
.LBB2_453:
	s_or_b64 exec, exec, s[8:9]
.LBB2_454:
	s_or_b64 exec, exec, s[10:11]
	buffer_load_dword v19, off, s[0:3], 0 offset:4
	v_add_u32_e32 v52, 64, v66
	s_waitcnt vmcnt(0)
	v_and_b32_e32 v18, 1, v19
	v_cmp_eq_u32_e32 vcc, 1, v18
	v_mov_b32_e32 v18, 0
	s_and_saveexec_b64 s[4:5], vcc
	s_cbranch_execz .LBB2_456
; %bb.455:
	v_mov_b32_e32 v18, 0
	buffer_store_byte v18, off, s[0:3], 0 offset:16
	v_mov_b32_e32 v18, 1
.LBB2_456:
	s_or_b64 exec, exec, s[4:5]
	v_and_b32_e32 v20, 2, v19
	v_cmp_ne_u32_e32 vcc, 0, v20
	s_and_saveexec_b64 s[4:5], vcc
	s_cbranch_execz .LBB2_458
; %bb.457:
	v_add_u32_e32 v20, 1, v18
	v_or_b32_e32 v18, 16, v18
	v_mov_b32_e32 v21, 1
	buffer_store_byte v21, v18, s[0:3], 0 offen
	v_mov_b32_e32 v18, v20
.LBB2_458:
	s_or_b64 exec, exec, s[4:5]
	v_and_b32_e32 v20, 4, v19
	v_cmp_ne_u32_e32 vcc, 0, v20
	s_and_saveexec_b64 s[4:5], vcc
	s_cbranch_execz .LBB2_460
; %bb.459:
	v_or_b32_e32 v20, 16, v18
	v_add_u32_e32 v18, 1, v18
	v_mov_b32_e32 v21, 2
	buffer_store_byte v21, v20, s[0:3], 0 offen
.LBB2_460:
	s_or_b64 exec, exec, s[4:5]
	v_and_b32_e32 v20, 8, v19
	v_cmp_ne_u32_e32 vcc, 0, v20
	s_and_saveexec_b64 s[4:5], vcc
	s_cbranch_execz .LBB2_462
; %bb.461:
	v_or_b32_e32 v20, 16, v18
	v_add_u32_e32 v18, 1, v18
	v_mov_b32_e32 v21, 3
	buffer_store_byte v21, v20, s[0:3], 0 offen
.LBB2_462:
	;; [unrolled: 11-line block ×3, first 2 shown]
	s_or_b64 exec, exec, s[4:5]
	v_and_b32_e32 v20, 32, v19
	v_cmp_ne_u32_e32 vcc, 0, v20
	s_and_saveexec_b64 s[4:5], vcc
	s_cbranch_execz .LBB2_466
; %bb.465:
	v_add_u32_e32 v20, 16, v18
	v_add_u32_e32 v18, 1, v18
	v_mov_b32_e32 v21, 5
	buffer_store_byte v21, v20, s[0:3], 0 offen
.LBB2_466:
	s_or_b64 exec, exec, s[4:5]
	v_and_b32_e32 v20, 64, v19
	v_cmp_ne_u32_e32 vcc, 0, v20
	s_and_saveexec_b64 s[4:5], vcc
	s_cbranch_execz .LBB2_468
; %bb.467:
	v_add_u32_e32 v20, 16, v18
	v_add_u32_e32 v18, 1, v18
	v_mov_b32_e32 v21, 6
	buffer_store_byte v21, v20, s[0:3], 0 offen
.LBB2_468:
	;; [unrolled: 11-line block ×19, first 2 shown]
	s_or_b64 exec, exec, s[4:5]
	v_cmp_ne_u32_e32 vcc, 0, v18
	s_and_saveexec_b64 s[4:5], vcc
	s_cbranch_execz .LBB2_534
; %bb.503:
	v_add_f64 v[26:27], v[34:35], v[34:35]
	v_mul_f64 v[20:21], v[26:27], 0.5
	v_fma_f64 v[28:29], 0.5, v[20:21], v[4:5]
	v_fma_f64 v[22:23], v[26:27], 0.5, 0
	v_fma_f64 v[24:25], v[20:21], v[28:29], 0
	v_fmac_f64_e32 v[22:23], 0.5, v[26:27]
	v_fmac_f64_e32 v[24:25], v[20:21], v[28:29]
	s_mov_b32 s8, 0
	s_mov_b32 s10, 0x55555555
	v_mov_b32_e32 v19, 0
	v_fmac_f64_e32 v[22:23], 0.5, v[26:27]
	v_fmac_f64_e32 v[24:25], v[20:21], v[28:29]
	v_mov_b32_e32 v53, 16
	s_mov_b64 s[6:7], 0
	s_mov_b32 s9, 0x3fd00000
	v_mov_b32_e32 v54, 0xf0
	s_mov_b32 s11, 0x3fd55555
	s_branch .LBB2_506
.LBB2_504:                              ;   in Loop: Header=BB2_506 Depth=1
	s_or_b64 exec, exec, s[14:15]
	v_mov_b32_e32 v56, v55
	v_mov_b32_e32 v55, v67
.LBB2_505:                              ;   in Loop: Header=BB2_506 Depth=1
	s_or_b64 exec, exec, s[12:13]
	v_lshl_add_u32 v72, v56, 3, v54
	v_lshl_add_u32 v55, v55, 3, v54
	buffer_load_dword v56, v72, s[0:3], 0 offen
	buffer_load_dword v57, v72, s[0:3], 0 offen offset:4
	buffer_load_dword v67, v55, s[0:3], 0 offen offset:4
	;; [unrolled: 1-line block ×3, first 2 shown]
	buffer_load_dword v66, v55, s[0:3], 0 offen
	buffer_load_dword v71, v72, s[0:3], 0 offen offset:68
	buffer_load_dword v70, v72, s[0:3], 0 offen offset:64
	;; [unrolled: 1-line block ×3, first 2 shown]
	s_waitcnt vmcnt(20)
	v_add_f64 v[44:45], v[44:45], v[46:47]
	s_waitcnt vmcnt(17)
	v_add_f64 v[28:29], v[44:45], v[28:29]
	s_waitcnt vmcnt(12)
	v_add_f64 v[46:47], v[48:49], v[50:51]
	v_add_f64 v[26:27], v[28:29], v[26:27]
	s_waitcnt vmcnt(10)
	v_add_f64 v[42:43], v[46:47], v[42:43]
	v_fma_f64 v[26:27], v[26:27], s[8:9], -v[0:1]
	s_waitcnt vmcnt(8)
	v_add_f64 v[28:29], v[42:43], v[40:41]
	v_mul_f64 v[26:27], v[32:33], v[26:27]
	v_fma_f64 v[28:29], v[28:29], s[8:9], -v[8:9]
	ds_write2_b64 v58, v[34:35], v[34:35] offset0:20 offset1:22
	v_add_co_u32_e32 v18, vcc, -1, v18
	v_addc_co_u32_e32 v19, vcc, -1, v19, vcc
	v_cmp_eq_u64_e32 vcc, 0, v[18:19]
	s_or_b64 s[6:7], vcc, s[6:7]
	v_add_u32_e32 v53, 1, v53
	s_waitcnt vmcnt(3)
	v_add_f64 v[42:43], v[66:67], -v[0:1]
	v_mul_f64 v[50:51], v[32:33], v[42:43]
	v_add_f64 v[40:41], v[56:57], -v[0:1]
	s_waitcnt vmcnt(0)
	v_add_f64 v[46:47], v[68:69], -v[8:9]
	v_add_f64 v[44:45], v[70:71], -v[8:9]
	v_mul_f64 v[48:49], v[32:33], v[40:41]
	v_mul_f64 v[46:47], v[6:7], v[46:47]
	v_fma_f64 v[66:67], v[32:33], v[40:41], v[26:27]
	v_fma_f64 v[68:69], v[32:33], v[42:43], v[26:27]
	v_mul_f64 v[56:57], v[6:7], v[44:45]
	v_fma_f64 v[70:71], -v[32:33], v[42:43], v[26:27]
	ds_write2_b64 v58, v[48:49], v[50:51] offset1:2
	ds_write2_b64 v58, v[56:57], v[46:47] offset0:10 offset1:12
	v_fma_f64 v[50:51], v[36:37], v[66:67], v[0:1]
	v_fma_f64 v[66:67], v[36:37], v[68:69], v[0:1]
	;; [unrolled: 1-line block ×3, first 2 shown]
	v_fma_f64 v[40:41], v[32:33], v[40:41], -v[26:27]
	v_fmac_f64_e32 v[56:57], v[6:7], v[28:29]
	v_fmac_f64_e32 v[46:47], v[6:7], v[44:45]
	v_fma_f64 v[44:45], v[20:21], v[50:51], 0
	v_fma_f64 v[50:51], v[38:39], v[68:69], v[8:9]
	v_mul_f64 v[68:69], v[70:71], v[68:69]
	v_fma_f64 v[72:73], v[32:33], v[42:43], v[48:49]
	v_fma_f64 v[42:43], v[32:33], v[42:43], -v[48:49]
	v_fma_f64 v[48:49], v[38:39], v[56:57], v[8:9]
	v_fmac_f64_e32 v[68:69], v[40:41], v[56:57]
	v_fma_f64 v[48:49], v[20:21], v[48:49], 0
	v_fmac_f64_e32 v[68:69], v[42:43], v[46:47]
	v_fma_f64 v[72:73], v[36:37], v[72:73], v[0:1]
	v_fma_f64 v[74:75], v[38:39], v[46:47], v[8:9]
	v_fmac_f64_e32 v[44:45], v[20:21], v[66:67]
	v_fmac_f64_e32 v[48:49], v[20:21], v[50:51]
	v_mul_f64 v[40:41], v[68:69], 0.5
	v_fmac_f64_e32 v[44:45], v[20:21], v[72:73]
	v_fmac_f64_e32 v[48:49], v[20:21], v[74:75]
	v_mul_f64 v[40:41], v[40:41], s[10:11]
	v_fma_f64 v[42:43], v[22:23], v[40:41], 0
	v_fma_f64 v[44:45], v[44:45], v[40:41], 0
	;; [unrolled: 1-line block ×4, first 2 shown]
	v_fmac_f64_e32 v[14:15], v[2:3], v[42:43]
	v_fmac_f64_e32 v[16:17], v[2:3], v[44:45]
	;; [unrolled: 1-line block ×4, first 2 shown]
	s_andn2_b64 exec, exec, s[6:7]
	s_cbranch_execz .LBB2_533
.LBB2_506:                              ; =>This Inner Loop Header: Depth=1
	buffer_load_ubyte v56, v53, s[0:3], 0 offen
                                        ; implicit-def: $vgpr66
                                        ; implicit-def: $vgpr40
                                        ; implicit-def: $vgpr57
                                        ; implicit-def: $vgpr41
                                        ; implicit-def: $vgpr67
                                        ; implicit-def: $vgpr43
                                        ; implicit-def: $vgpr42
	s_waitcnt vmcnt(0)
	v_lshrrev_b32_e32 v55, 2, v56
	v_cmp_lt_i32_e32 vcc, 1, v55
	s_and_saveexec_b64 s[12:13], vcc
	s_xor_b64 s[12:13], exec, s[12:13]
	s_cbranch_execz .LBB2_520
; %bb.507:                              ;   in Loop: Header=BB2_506 Depth=1
	v_cmp_lt_i32_e32 vcc, 2, v55
                                        ; implicit-def: $vgpr66
                                        ; implicit-def: $vgpr40
                                        ; implicit-def: $vgpr57
                                        ; implicit-def: $vgpr41
                                        ; implicit-def: $vgpr67
                                        ; implicit-def: $vgpr43
                                        ; implicit-def: $vgpr42
	s_and_saveexec_b64 s[14:15], vcc
	s_xor_b64 s[14:15], exec, s[14:15]
	s_cbranch_execz .LBB2_517
; %bb.508:                              ;   in Loop: Header=BB2_506 Depth=1
	v_cmp_lt_i32_e32 vcc, 3, v55
                                        ; implicit-def: $vgpr66
                                        ; implicit-def: $vgpr40
                                        ; implicit-def: $vgpr57
                                        ; implicit-def: $vgpr41
                                        ; implicit-def: $vgpr67
                                        ; implicit-def: $vgpr43
                                        ; implicit-def: $vgpr42
	s_and_saveexec_b64 s[16:17], vcc
	s_xor_b64 s[16:17], exec, s[16:17]
	s_cbranch_execz .LBB2_514
; %bb.509:                              ;   in Loop: Header=BB2_506 Depth=1
	v_cmp_ne_u32_e32 vcc, 4, v55
                                        ; implicit-def: $sgpr20
                                        ; implicit-def: $sgpr21
                                        ; implicit-def: $sgpr22
                                        ; implicit-def: $sgpr23
	s_and_saveexec_b64 s[18:19], vcc
	s_xor_b64 s[18:19], exec, s[18:19]
; %bb.510:                              ;   in Loop: Header=BB2_506 Depth=1
	s_mov_b32 s23, 4
	s_mov_b32 s22, 6
	;; [unrolled: 1-line block ×4, first 2 shown]
; %bb.511:                              ;   in Loop: Header=BB2_506 Depth=1
	s_or_saveexec_b64 s[18:19], s[18:19]
	v_mov_b32_e32 v66, s20
	v_mov_b32_e32 v57, s21
	;; [unrolled: 1-line block ×8, first 2 shown]
	s_xor_b64 exec, exec, s[18:19]
; %bb.512:                              ;   in Loop: Header=BB2_506 Depth=1
	v_mov_b32_e32 v42, 0xf0
	v_mov_b32_e32 v66, 2
	;; [unrolled: 1-line block ×8, first 2 shown]
; %bb.513:                              ;   in Loop: Header=BB2_506 Depth=1
	s_or_b64 exec, exec, s[18:19]
.LBB2_514:                              ;   in Loop: Header=BB2_506 Depth=1
	s_andn2_saveexec_b64 s[16:17], s[16:17]
; %bb.515:                              ;   in Loop: Header=BB2_506 Depth=1
	v_mov_b32_e32 v66, 6
	v_mov_b32_e32 v57, 7
	v_mov_b32_e32 v67, 3
	v_mov_b32_e32 v55, 2
	v_mov_b32_e32 v40, v61
	v_mov_b32_e32 v41, v65
	v_mov_b32_e32 v43, v63
	v_mov_b32_e32 v42, v60
; %bb.516:                              ;   in Loop: Header=BB2_506 Depth=1
	s_or_b64 exec, exec, s[16:17]
.LBB2_517:                              ;   in Loop: Header=BB2_506 Depth=1
	s_andn2_saveexec_b64 s[14:15], s[14:15]
; %bb.518:                              ;   in Loop: Header=BB2_506 Depth=1
	v_mov_b32_e32 v42, 0xf0
	v_mov_b32_e32 v66, 1
	;; [unrolled: 1-line block ×8, first 2 shown]
; %bb.519:                              ;   in Loop: Header=BB2_506 Depth=1
	s_or_b64 exec, exec, s[14:15]
.LBB2_520:                              ;   in Loop: Header=BB2_506 Depth=1
	s_andn2_saveexec_b64 s[12:13], s[12:13]
	s_cbranch_execz .LBB2_524
; %bb.521:                              ;   in Loop: Header=BB2_506 Depth=1
	v_cmp_lt_i32_e32 vcc, 0, v55
	v_mov_b32_e32 v42, 0xf0
	v_mov_b32_e32 v66, 4
	;; [unrolled: 1-line block ×7, first 2 shown]
	s_and_saveexec_b64 s[14:15], vcc
; %bb.522:                              ;   in Loop: Header=BB2_506 Depth=1
	v_mov_b32_e32 v66, 3
	v_mov_b32_e32 v57, 7
	;; [unrolled: 1-line block ×8, first 2 shown]
; %bb.523:                              ;   in Loop: Header=BB2_506 Depth=1
	s_or_b64 exec, exec, s[14:15]
.LBB2_524:                              ;   in Loop: Header=BB2_506 Depth=1
	s_or_b64 exec, exec, s[12:13]
	v_lshl_add_u32 v68, v55, 3, v52
	buffer_load_dword v45, v42, s[0:3], 0 offen offset:4
	buffer_load_dword v44, v42, s[0:3], 0 offen
	buffer_load_dword v47, v43, s[0:3], 0 offen offset:4
	buffer_load_dword v46, v43, s[0:3], 0 offen
	;; [unrolled: 2-line block ×3, first 2 shown]
	buffer_load_dword v28, v41, s[0:3], 0 offen
	buffer_load_dword v27, v40, s[0:3], 0 offen offset:4
	v_lshl_add_u32 v69, v67, 3, v52
	v_lshl_add_u32 v70, v57, 3, v52
	;; [unrolled: 1-line block ×3, first 2 shown]
	buffer_load_dword v48, v68, s[0:3], 0 offen
	buffer_load_dword v49, v68, s[0:3], 0 offen offset:4
	buffer_load_dword v50, v69, s[0:3], 0 offen
	buffer_load_dword v51, v69, s[0:3], 0 offen offset:4
	;; [unrolled: 2-line block ×4, first 2 shown]
	v_and_b32_e32 v68, 3, v56
	v_cmp_lt_i32_e32 vcc, 1, v68
                                        ; implicit-def: $vgpr56
	s_and_saveexec_b64 s[12:13], vcc
	s_xor_b64 s[12:13], exec, s[12:13]
	s_cbranch_execz .LBB2_530
; %bb.525:                              ;   in Loop: Header=BB2_506 Depth=1
	v_cmp_lt_i32_e32 vcc, 2, v68
	s_and_saveexec_b64 s[14:15], vcc
	s_xor_b64 s[14:15], exec, s[14:15]
; %bb.526:                              ;   in Loop: Header=BB2_506 Depth=1
                                        ; implicit-def: $vgpr57
; %bb.527:                              ;   in Loop: Header=BB2_506 Depth=1
	s_or_saveexec_b64 s[14:15], s[14:15]
	v_mov_b32_e32 v56, v66
	s_xor_b64 exec, exec, s[14:15]
; %bb.528:                              ;   in Loop: Header=BB2_506 Depth=1
	v_mov_b32_e32 v56, v57
	v_mov_b32_e32 v55, v66
; %bb.529:                              ;   in Loop: Header=BB2_506 Depth=1
	s_or_b64 exec, exec, s[14:15]
                                        ; implicit-def: $vgpr67
                                        ; implicit-def: $vgpr57
                                        ; implicit-def: $vgpr68
.LBB2_530:                              ;   in Loop: Header=BB2_506 Depth=1
	s_andn2_saveexec_b64 s[12:13], s[12:13]
	s_cbranch_execz .LBB2_505
; %bb.531:                              ;   in Loop: Header=BB2_506 Depth=1
	v_cmp_eq_u32_e32 vcc, 1, v68
	s_and_saveexec_b64 s[14:15], vcc
	s_cbranch_execz .LBB2_504
; %bb.532:                              ;   in Loop: Header=BB2_506 Depth=1
	v_mov_b32_e32 v55, v67
	v_mov_b32_e32 v67, v57
	s_branch .LBB2_504
.LBB2_533:
	s_or_b64 exec, exec, s[6:7]
	v_mul_f64 v[18:19], v[6:7], v[28:29]
	ds_write2_b64 v58, v[26:27], v[18:19] offset0:1 offset1:11
	ds_write_b64 v58, v[34:35] offset:168
.LBB2_534:
	s_or_b64 exec, exec, s[4:5]
	buffer_load_dword v19, off, s[0:3], 0
	s_waitcnt vmcnt(0)
	v_and_b32_e32 v18, 1, v19
	v_cmp_eq_u32_e32 vcc, 1, v18
	v_mov_b32_e32 v18, 0
	s_and_saveexec_b64 s[4:5], vcc
	s_cbranch_execz .LBB2_536
; %bb.535:
	v_mov_b32_e32 v18, 0
	buffer_store_byte v18, off, s[0:3], 0 offset:16
	v_mov_b32_e32 v18, 1
.LBB2_536:
	s_or_b64 exec, exec, s[4:5]
	v_and_b32_e32 v20, 2, v19
	v_cmp_ne_u32_e32 vcc, 0, v20
	s_and_saveexec_b64 s[4:5], vcc
	s_cbranch_execz .LBB2_538
; %bb.537:
	v_add_u32_e32 v20, 1, v18
	v_or_b32_e32 v18, 16, v18
	v_mov_b32_e32 v21, 1
	buffer_store_byte v21, v18, s[0:3], 0 offen
	v_mov_b32_e32 v18, v20
.LBB2_538:
	s_or_b64 exec, exec, s[4:5]
	v_and_b32_e32 v20, 4, v19
	v_cmp_ne_u32_e32 vcc, 0, v20
	s_and_saveexec_b64 s[4:5], vcc
	s_cbranch_execz .LBB2_540
; %bb.539:
	v_or_b32_e32 v20, 16, v18
	v_add_u32_e32 v18, 1, v18
	v_mov_b32_e32 v21, 2
	buffer_store_byte v21, v20, s[0:3], 0 offen
.LBB2_540:
	s_or_b64 exec, exec, s[4:5]
	v_and_b32_e32 v20, 8, v19
	v_cmp_ne_u32_e32 vcc, 0, v20
	s_and_saveexec_b64 s[4:5], vcc
	s_cbranch_execz .LBB2_542
; %bb.541:
	v_or_b32_e32 v20, 16, v18
	v_add_u32_e32 v18, 1, v18
	v_mov_b32_e32 v21, 3
	buffer_store_byte v21, v20, s[0:3], 0 offen
.LBB2_542:
	;; [unrolled: 11-line block ×3, first 2 shown]
	s_or_b64 exec, exec, s[4:5]
	v_and_b32_e32 v20, 32, v19
	v_cmp_ne_u32_e32 vcc, 0, v20
	s_and_saveexec_b64 s[4:5], vcc
	s_cbranch_execz .LBB2_546
; %bb.545:
	v_add_u32_e32 v20, 16, v18
	v_add_u32_e32 v18, 1, v18
	v_mov_b32_e32 v21, 5
	buffer_store_byte v21, v20, s[0:3], 0 offen
.LBB2_546:
	s_or_b64 exec, exec, s[4:5]
	v_and_b32_e32 v20, 64, v19
	v_cmp_ne_u32_e32 vcc, 0, v20
	s_and_saveexec_b64 s[4:5], vcc
	s_cbranch_execz .LBB2_548
; %bb.547:
	v_add_u32_e32 v20, 16, v18
	v_add_u32_e32 v18, 1, v18
	v_mov_b32_e32 v21, 6
	buffer_store_byte v21, v20, s[0:3], 0 offen
.LBB2_548:
	;; [unrolled: 11-line block ×19, first 2 shown]
	s_or_b64 exec, exec, s[4:5]
	v_cmp_ne_u32_e32 vcc, 0, v18
	s_and_saveexec_b64 s[4:5], vcc
	s_cbranch_execz .LBB2_614
; %bb.583:
	s_mov_b32 s8, 0
	s_mov_b32 s10, 0x55555555
	v_mov_b32_e32 v19, 0
	v_mov_b32_e32 v52, 16
	s_mov_b64 s[6:7], 0
	v_mov_b32_e32 v53, 0xf0
	s_mov_b32 s9, 0x3fd00000
	s_mov_b32 s11, 0x3fd55555
	s_branch .LBB2_586
.LBB2_584:                              ;   in Loop: Header=BB2_586 Depth=1
	s_or_b64 exec, exec, s[14:15]
	v_mov_b32_e32 v55, v54
	v_mov_b32_e32 v54, v66
.LBB2_585:                              ;   in Loop: Header=BB2_586 Depth=1
	s_or_b64 exec, exec, s[12:13]
	v_lshl_add_u32 v74, v55, 3, v53
	v_lshl_add_u32 v75, v54, 3, v53
	buffer_load_dword v56, v74, s[0:3], 0 offen
	buffer_load_dword v57, v74, s[0:3], 0 offen offset:4
	buffer_load_dword v54, v75, s[0:3], 0 offen
	buffer_load_dword v55, v75, s[0:3], 0 offen offset:4
	buffer_load_dword v66, v74, s[0:3], 0 offen offset:128
	;; [unrolled: 1-line block ×9, first 2 shown]
	s_waitcnt vmcnt(32)
	v_add_f64 v[20:21], v[20:21], v[26:27]
	s_waitcnt vmcnt(19)
	v_add_f64 v[26:27], v[28:29], v[42:43]
	;; [unrolled: 2-line block ×3, first 2 shown]
	v_add_f64 v[20:21], v[20:21], v[24:25]
	v_add_f64 v[24:25], v[26:27], v[34:35]
	s_waitcnt vmcnt(12)
	v_add_f64 v[26:27], v[28:29], v[50:51]
	v_add_f64 v[20:21], v[20:21], v[22:23]
	;; [unrolled: 1-line block ×4, first 2 shown]
	v_fma_f64 v[26:27], v[20:21], s[8:9], -v[0:1]
	v_fma_f64 v[22:23], v[22:23], s[8:9], -v[8:9]
	;; [unrolled: 1-line block ×3, first 2 shown]
	v_mul_f64 v[24:25], v[32:33], v[26:27]
	v_add_co_u32_e32 v18, vcc, -1, v18
	v_addc_co_u32_e32 v19, vcc, -1, v19, vcc
	v_cmp_eq_u64_e32 vcc, 0, v[18:19]
	s_or_b64 s[6:7], vcc, s[6:7]
	v_add_u32_e32 v52, 1, v52
	s_waitcnt vmcnt(8)
	v_add_f64 v[28:29], v[54:55], -v[0:1]
	v_mul_f64 v[48:49], v[32:33], v[28:29]
	s_waitcnt vmcnt(5)
	v_add_f64 v[34:35], v[68:69], -v[8:9]
	v_mul_f64 v[50:51], v[6:7], v[34:35]
	v_fma_f64 v[68:69], v[32:33], v[28:29], v[24:25]
	s_waitcnt vmcnt(2)
	v_add_f64 v[40:41], v[72:73], -v[8:9]
	v_add_f64 v[26:27], v[56:57], -v[0:1]
	s_waitcnt vmcnt(1)
	v_add_f64 v[42:43], v[66:67], -v[4:5]
	s_waitcnt vmcnt(0)
	v_add_f64 v[44:45], v[70:71], -v[4:5]
	v_mul_f64 v[40:41], v[6:7], v[40:41]
	v_mul_f64 v[46:47], v[32:33], v[26:27]
	ds_write2_b64 v58, v[42:43], v[44:45] offset0:20 offset1:22
	v_add_f64 v[54:55], v[20:21], v[42:43]
	v_fma_f64 v[56:57], v[32:33], v[26:27], v[24:25]
	v_add_f64 v[66:67], v[20:21], v[44:45]
	v_add_f64 v[42:43], v[42:43], v[44:45]
	v_fma_f64 v[44:45], -v[32:33], v[28:29], v[24:25]
	v_fma_f64 v[72:73], v[6:7], v[22:23], v[40:41]
	v_fma_f64 v[26:27], v[32:33], v[26:27], -v[24:25]
	ds_write2_b64 v58, v[46:47], v[48:49] offset1:2
	ds_write2_b64 v58, v[50:51], v[40:41] offset0:10 offset1:12
	v_mul_f64 v[48:49], v[54:55], 0.5
	v_fma_f64 v[56:57], v[36:37], v[56:57], v[0:1]
	v_fmac_f64_e32 v[50:51], v[6:7], v[22:23]
	v_mul_f64 v[44:45], v[44:45], v[72:73]
	v_fma_f64 v[54:55], v[54:55], 0.5, 0
	v_mul_f64 v[70:71], v[66:67], 0.5
	v_fma_f64 v[76:77], v[32:33], v[28:29], v[46:47]
	v_fmac_f64_e32 v[40:41], v[6:7], v[34:35]
	v_fma_f64 v[28:29], v[32:33], v[28:29], -v[46:47]
	v_fma_f64 v[34:35], v[56:57], v[48:49], 0
	v_fma_f64 v[46:47], v[38:39], v[50:51], v[8:9]
	v_fma_f64 v[56:57], 0.5, v[48:49], v[4:5]
	v_fmac_f64_e32 v[44:45], v[26:27], v[50:51]
	v_fma_f64 v[68:69], v[36:37], v[68:69], v[0:1]
	v_mul_f64 v[74:75], v[42:43], 0.5
	v_fmac_f64_e32 v[54:55], 0.5, v[66:67]
	v_fma_f64 v[66:67], v[38:39], v[72:73], v[8:9]
	v_fma_f64 v[78:79], 0.5, v[70:71], v[4:5]
	v_fma_f64 v[46:47], v[46:47], v[48:49], 0
	v_fma_f64 v[48:49], v[48:49], v[56:57], 0
	v_fmac_f64_e32 v[44:45], v[28:29], v[40:41]
	v_fma_f64 v[76:77], v[36:37], v[76:77], v[0:1]
	v_fma_f64 v[80:81], v[38:39], v[40:41], v[8:9]
	v_fma_f64 v[82:83], 0.5, v[74:75], v[4:5]
	v_fmac_f64_e32 v[34:35], v[68:69], v[70:71]
	v_fmac_f64_e32 v[46:47], v[66:67], v[70:71]
	;; [unrolled: 1-line block ×3, first 2 shown]
	v_mul_f64 v[26:27], v[44:45], 0.5
	v_fmac_f64_e32 v[54:55], 0.5, v[42:43]
	v_fmac_f64_e32 v[34:35], v[76:77], v[74:75]
	v_fmac_f64_e32 v[46:47], v[80:81], v[74:75]
	;; [unrolled: 1-line block ×3, first 2 shown]
	v_mul_f64 v[26:27], v[26:27], s[10:11]
	v_fma_f64 v[28:29], v[26:27], v[54:55], 0
	v_fma_f64 v[34:35], v[26:27], v[34:35], 0
	;; [unrolled: 1-line block ×4, first 2 shown]
	v_fmac_f64_e32 v[14:15], v[2:3], v[28:29]
	v_fmac_f64_e32 v[16:17], v[2:3], v[34:35]
	;; [unrolled: 1-line block ×4, first 2 shown]
	s_andn2_b64 exec, exec, s[6:7]
	s_cbranch_execz .LBB2_613
.LBB2_586:                              ; =>This Inner Loop Header: Depth=1
	buffer_load_ubyte v55, v52, s[0:3], 0 offen
                                        ; implicit-def: $vgpr57
                                        ; implicit-def: $vgpr28
                                        ; implicit-def: $vgpr56
                                        ; implicit-def: $vgpr29
                                        ; implicit-def: $vgpr66
                                        ; implicit-def: $vgpr35
                                        ; implicit-def: $vgpr34
	s_waitcnt vmcnt(0)
	v_lshrrev_b32_e32 v54, 2, v55
	v_cmp_lt_i32_e32 vcc, 1, v54
	s_and_saveexec_b64 s[12:13], vcc
	s_xor_b64 s[12:13], exec, s[12:13]
	s_cbranch_execz .LBB2_600
; %bb.587:                              ;   in Loop: Header=BB2_586 Depth=1
	v_cmp_lt_i32_e32 vcc, 2, v54
                                        ; implicit-def: $vgpr57
                                        ; implicit-def: $vgpr28
                                        ; implicit-def: $vgpr56
                                        ; implicit-def: $vgpr29
                                        ; implicit-def: $vgpr66
                                        ; implicit-def: $vgpr35
                                        ; implicit-def: $vgpr34
	s_and_saveexec_b64 s[14:15], vcc
	s_xor_b64 s[14:15], exec, s[14:15]
	s_cbranch_execz .LBB2_597
; %bb.588:                              ;   in Loop: Header=BB2_586 Depth=1
	v_cmp_lt_i32_e32 vcc, 3, v54
                                        ; implicit-def: $vgpr57
                                        ; implicit-def: $vgpr28
                                        ; implicit-def: $vgpr56
                                        ; implicit-def: $vgpr29
                                        ; implicit-def: $vgpr66
                                        ; implicit-def: $vgpr35
                                        ; implicit-def: $vgpr34
	s_and_saveexec_b64 s[16:17], vcc
	s_xor_b64 s[16:17], exec, s[16:17]
	s_cbranch_execz .LBB2_594
; %bb.589:                              ;   in Loop: Header=BB2_586 Depth=1
	v_cmp_ne_u32_e32 vcc, 4, v54
                                        ; implicit-def: $sgpr20
                                        ; implicit-def: $sgpr21
                                        ; implicit-def: $sgpr22
                                        ; implicit-def: $sgpr23
	s_and_saveexec_b64 s[18:19], vcc
	s_xor_b64 s[18:19], exec, s[18:19]
; %bb.590:                              ;   in Loop: Header=BB2_586 Depth=1
	s_mov_b32 s23, 4
	s_mov_b32 s22, 6
	;; [unrolled: 1-line block ×4, first 2 shown]
; %bb.591:                              ;   in Loop: Header=BB2_586 Depth=1
	s_or_saveexec_b64 s[18:19], s[18:19]
	v_mov_b32_e32 v57, s20
	v_mov_b32_e32 v56, s21
	;; [unrolled: 1-line block ×8, first 2 shown]
	s_xor_b64 exec, exec, s[18:19]
; %bb.592:                              ;   in Loop: Header=BB2_586 Depth=1
	v_mov_b32_e32 v34, 0xf0
	v_mov_b32_e32 v57, 2
	;; [unrolled: 1-line block ×8, first 2 shown]
; %bb.593:                              ;   in Loop: Header=BB2_586 Depth=1
	s_or_b64 exec, exec, s[18:19]
.LBB2_594:                              ;   in Loop: Header=BB2_586 Depth=1
	s_andn2_saveexec_b64 s[16:17], s[16:17]
; %bb.595:                              ;   in Loop: Header=BB2_586 Depth=1
	v_mov_b32_e32 v57, 6
	v_mov_b32_e32 v56, 7
	;; [unrolled: 1-line block ×8, first 2 shown]
; %bb.596:                              ;   in Loop: Header=BB2_586 Depth=1
	s_or_b64 exec, exec, s[16:17]
.LBB2_597:                              ;   in Loop: Header=BB2_586 Depth=1
	s_andn2_saveexec_b64 s[14:15], s[14:15]
; %bb.598:                              ;   in Loop: Header=BB2_586 Depth=1
	v_mov_b32_e32 v34, 0xf0
	v_mov_b32_e32 v57, 1
	;; [unrolled: 1-line block ×8, first 2 shown]
; %bb.599:                              ;   in Loop: Header=BB2_586 Depth=1
	s_or_b64 exec, exec, s[14:15]
.LBB2_600:                              ;   in Loop: Header=BB2_586 Depth=1
	s_andn2_saveexec_b64 s[12:13], s[12:13]
	s_cbranch_execz .LBB2_604
; %bb.601:                              ;   in Loop: Header=BB2_586 Depth=1
	v_cmp_lt_i32_e32 vcc, 0, v54
	v_mov_b32_e32 v34, 0xf0
	v_mov_b32_e32 v57, 4
	;; [unrolled: 1-line block ×7, first 2 shown]
	s_and_saveexec_b64 s[14:15], vcc
; %bb.602:                              ;   in Loop: Header=BB2_586 Depth=1
	v_mov_b32_e32 v57, 3
	v_mov_b32_e32 v56, 7
	;; [unrolled: 1-line block ×8, first 2 shown]
; %bb.603:                              ;   in Loop: Header=BB2_586 Depth=1
	s_or_b64 exec, exec, s[14:15]
.LBB2_604:                              ;   in Loop: Header=BB2_586 Depth=1
	s_or_b64 exec, exec, s[12:13]
	v_lshl_add_u32 v67, v54, 3, v53
	v_lshl_add_u32 v68, v66, 3, v53
	;; [unrolled: 1-line block ×4, first 2 shown]
	buffer_load_dword v21, v34, s[0:3], 0 offen offset:4
	buffer_load_dword v20, v34, s[0:3], 0 offen
	buffer_load_dword v27, v35, s[0:3], 0 offen offset:4
	buffer_load_dword v26, v35, s[0:3], 0 offen
	;; [unrolled: 2-line block ×3, first 2 shown]
	buffer_load_dword v24, v29, s[0:3], 0 offen
	buffer_load_dword v23, v28, s[0:3], 0 offen offset:4
	s_nop 0
	buffer_load_dword v28, v67, s[0:3], 0 offen offset:64
	buffer_load_dword v29, v67, s[0:3], 0 offen offset:68
	;; [unrolled: 1-line block ×16, first 2 shown]
	v_and_b32_e32 v67, 3, v55
	v_cmp_lt_i32_e32 vcc, 1, v67
                                        ; implicit-def: $vgpr55
	s_and_saveexec_b64 s[12:13], vcc
	s_xor_b64 s[12:13], exec, s[12:13]
	s_cbranch_execz .LBB2_610
; %bb.605:                              ;   in Loop: Header=BB2_586 Depth=1
	v_cmp_lt_i32_e32 vcc, 2, v67
	s_and_saveexec_b64 s[14:15], vcc
	s_xor_b64 s[14:15], exec, s[14:15]
; %bb.606:                              ;   in Loop: Header=BB2_586 Depth=1
                                        ; implicit-def: $vgpr56
; %bb.607:                              ;   in Loop: Header=BB2_586 Depth=1
	s_or_saveexec_b64 s[14:15], s[14:15]
	v_mov_b32_e32 v55, v57
	s_xor_b64 exec, exec, s[14:15]
; %bb.608:                              ;   in Loop: Header=BB2_586 Depth=1
	v_mov_b32_e32 v55, v56
	v_mov_b32_e32 v54, v57
; %bb.609:                              ;   in Loop: Header=BB2_586 Depth=1
	s_or_b64 exec, exec, s[14:15]
                                        ; implicit-def: $vgpr66
                                        ; implicit-def: $vgpr56
                                        ; implicit-def: $vgpr67
.LBB2_610:                              ;   in Loop: Header=BB2_586 Depth=1
	s_andn2_saveexec_b64 s[12:13], s[12:13]
	s_cbranch_execz .LBB2_585
; %bb.611:                              ;   in Loop: Header=BB2_586 Depth=1
	v_cmp_eq_u32_e32 vcc, 1, v67
	s_and_saveexec_b64 s[14:15], vcc
	s_cbranch_execz .LBB2_584
; %bb.612:                              ;   in Loop: Header=BB2_586 Depth=1
	v_mov_b32_e32 v54, v66
	v_mov_b32_e32 v66, v56
	s_branch .LBB2_584
.LBB2_613:
	s_or_b64 exec, exec, s[6:7]
	v_mul_f64 v[0:1], v[6:7], v[22:23]
	ds_write2_b64 v58, v[24:25], v[0:1] offset0:1 offset1:11
	ds_write_b64 v58, v[20:21] offset:168
.LBB2_614:
	s_or_b64 exec, exec, s[4:5]
	v_lshlrev_b64 v[0:1], 5, v[30:31]
	v_mov_b32_e32 v2, s37
	v_add_co_u32_e32 v0, vcc, s36, v0
	v_addc_co_u32_e32 v1, vcc, v2, v1, vcc
	global_store_dwordx4 v[0:1], v[14:17], off
	global_store_dwordx4 v[0:1], v[10:13], off offset:16
.LBB2_615:
	s_endpgm
	.section	.rodata,"a",@progbits
	.p2align	6, 0x0
	.amdhsa_kernel _ZN4RAJA6policy3hip4impl18forallp_hip_kernelINS1_8hip_execINS_17iteration_mapping6DirectENS_3hip11IndexGlobalILNS_9named_dimE0ELi64ELi0EEENS7_40AvoidDeviceMaxThreadOccupancyConcretizerINS7_34FractionOffsetOccupancyConcretizerINS_8FractionImLm1ELm1EEELln1EEEEELb1EEENS_9Iterators16numeric_iteratorIllPlEEZN8rajaperf4apps13INTSC_HEXRECT17runHipVariantImplILm64EEEvNSM_9VariantIDEEUllE0_lNS_4expt15ForallParamPackIJEEES6_SA_TnNSt9enable_ifIXaasr3std10is_base_ofINS5_10DirectBaseET4_EE5valuegtsrT5_10block_sizeLi0EEmE4typeELm64EEEvT1_T0_T2_T3_
		.amdhsa_group_segment_fixed_size 15872
		.amdhsa_private_segment_fixed_size 448
		.amdhsa_kernarg_size 92
		.amdhsa_user_sgpr_count 8
		.amdhsa_user_sgpr_private_segment_buffer 1
		.amdhsa_user_sgpr_dispatch_ptr 0
		.amdhsa_user_sgpr_queue_ptr 0
		.amdhsa_user_sgpr_kernarg_segment_ptr 1
		.amdhsa_user_sgpr_dispatch_id 0
		.amdhsa_user_sgpr_flat_scratch_init 1
		.amdhsa_user_sgpr_kernarg_preload_length 0
		.amdhsa_user_sgpr_kernarg_preload_offset 0
		.amdhsa_user_sgpr_private_segment_size 0
		.amdhsa_uses_dynamic_stack 0
		.amdhsa_system_sgpr_private_segment_wavefront_offset 1
		.amdhsa_system_sgpr_workgroup_id_x 1
		.amdhsa_system_sgpr_workgroup_id_y 0
		.amdhsa_system_sgpr_workgroup_id_z 0
		.amdhsa_system_sgpr_workgroup_info 0
		.amdhsa_system_vgpr_workitem_id 0
		.amdhsa_next_free_vgpr 124
		.amdhsa_next_free_sgpr 52
		.amdhsa_accum_offset 124
		.amdhsa_reserve_vcc 1
		.amdhsa_reserve_flat_scratch 1
		.amdhsa_float_round_mode_32 0
		.amdhsa_float_round_mode_16_64 0
		.amdhsa_float_denorm_mode_32 3
		.amdhsa_float_denorm_mode_16_64 3
		.amdhsa_dx10_clamp 1
		.amdhsa_ieee_mode 1
		.amdhsa_fp16_overflow 0
		.amdhsa_tg_split 0
		.amdhsa_exception_fp_ieee_invalid_op 0
		.amdhsa_exception_fp_denorm_src 0
		.amdhsa_exception_fp_ieee_div_zero 0
		.amdhsa_exception_fp_ieee_overflow 0
		.amdhsa_exception_fp_ieee_underflow 0
		.amdhsa_exception_fp_ieee_inexact 0
		.amdhsa_exception_int_div_zero 0
	.end_amdhsa_kernel
	.section	.text._ZN4RAJA6policy3hip4impl18forallp_hip_kernelINS1_8hip_execINS_17iteration_mapping6DirectENS_3hip11IndexGlobalILNS_9named_dimE0ELi64ELi0EEENS7_40AvoidDeviceMaxThreadOccupancyConcretizerINS7_34FractionOffsetOccupancyConcretizerINS_8FractionImLm1ELm1EEELln1EEEEELb1EEENS_9Iterators16numeric_iteratorIllPlEEZN8rajaperf4apps13INTSC_HEXRECT17runHipVariantImplILm64EEEvNSM_9VariantIDEEUllE0_lNS_4expt15ForallParamPackIJEEES6_SA_TnNSt9enable_ifIXaasr3std10is_base_ofINS5_10DirectBaseET4_EE5valuegtsrT5_10block_sizeLi0EEmE4typeELm64EEEvT1_T0_T2_T3_,"axG",@progbits,_ZN4RAJA6policy3hip4impl18forallp_hip_kernelINS1_8hip_execINS_17iteration_mapping6DirectENS_3hip11IndexGlobalILNS_9named_dimE0ELi64ELi0EEENS7_40AvoidDeviceMaxThreadOccupancyConcretizerINS7_34FractionOffsetOccupancyConcretizerINS_8FractionImLm1ELm1EEELln1EEEEELb1EEENS_9Iterators16numeric_iteratorIllPlEEZN8rajaperf4apps13INTSC_HEXRECT17runHipVariantImplILm64EEEvNSM_9VariantIDEEUllE0_lNS_4expt15ForallParamPackIJEEES6_SA_TnNSt9enable_ifIXaasr3std10is_base_ofINS5_10DirectBaseET4_EE5valuegtsrT5_10block_sizeLi0EEmE4typeELm64EEEvT1_T0_T2_T3_,comdat
.Lfunc_end2:
	.size	_ZN4RAJA6policy3hip4impl18forallp_hip_kernelINS1_8hip_execINS_17iteration_mapping6DirectENS_3hip11IndexGlobalILNS_9named_dimE0ELi64ELi0EEENS7_40AvoidDeviceMaxThreadOccupancyConcretizerINS7_34FractionOffsetOccupancyConcretizerINS_8FractionImLm1ELm1EEELln1EEEEELb1EEENS_9Iterators16numeric_iteratorIllPlEEZN8rajaperf4apps13INTSC_HEXRECT17runHipVariantImplILm64EEEvNSM_9VariantIDEEUllE0_lNS_4expt15ForallParamPackIJEEES6_SA_TnNSt9enable_ifIXaasr3std10is_base_ofINS5_10DirectBaseET4_EE5valuegtsrT5_10block_sizeLi0EEmE4typeELm64EEEvT1_T0_T2_T3_, .Lfunc_end2-_ZN4RAJA6policy3hip4impl18forallp_hip_kernelINS1_8hip_execINS_17iteration_mapping6DirectENS_3hip11IndexGlobalILNS_9named_dimE0ELi64ELi0EEENS7_40AvoidDeviceMaxThreadOccupancyConcretizerINS7_34FractionOffsetOccupancyConcretizerINS_8FractionImLm1ELm1EEELln1EEEEELb1EEENS_9Iterators16numeric_iteratorIllPlEEZN8rajaperf4apps13INTSC_HEXRECT17runHipVariantImplILm64EEEvNSM_9VariantIDEEUllE0_lNS_4expt15ForallParamPackIJEEES6_SA_TnNSt9enable_ifIXaasr3std10is_base_ofINS5_10DirectBaseET4_EE5valuegtsrT5_10block_sizeLi0EEmE4typeELm64EEEvT1_T0_T2_T3_
                                        ; -- End function
	.section	.AMDGPU.csdata,"",@progbits
; Kernel info:
; codeLenInByte = 29660
; NumSgprs: 58
; NumVgprs: 124
; NumAgprs: 0
; TotalNumVgprs: 124
; ScratchSize: 448
; MemoryBound: 0
; FloatMode: 240
; IeeeMode: 1
; LDSByteSize: 15872 bytes/workgroup (compile time only)
; SGPRBlocks: 7
; VGPRBlocks: 15
; NumSGPRsForWavesPerEU: 58
; NumVGPRsForWavesPerEU: 124
; AccumOffset: 124
; Occupancy: 1
; WaveLimiterHint : 1
; COMPUTE_PGM_RSRC2:SCRATCH_EN: 1
; COMPUTE_PGM_RSRC2:USER_SGPR: 8
; COMPUTE_PGM_RSRC2:TRAP_HANDLER: 0
; COMPUTE_PGM_RSRC2:TGID_X_EN: 1
; COMPUTE_PGM_RSRC2:TGID_Y_EN: 0
; COMPUTE_PGM_RSRC2:TGID_Z_EN: 0
; COMPUTE_PGM_RSRC2:TIDIG_COMP_CNT: 0
; COMPUTE_PGM_RSRC3_GFX90A:ACCUM_OFFSET: 30
; COMPUTE_PGM_RSRC3_GFX90A:TG_SPLIT: 0
	.text
	.p2alignl 6, 3212836864
	.fill 256, 4, 3212836864
	.type	__hip_cuid_976ec03b5226a98f,@object ; @__hip_cuid_976ec03b5226a98f
	.section	.bss,"aw",@nobits
	.globl	__hip_cuid_976ec03b5226a98f
__hip_cuid_976ec03b5226a98f:
	.byte	0                               ; 0x0
	.size	__hip_cuid_976ec03b5226a98f, 1

	.ident	"AMD clang version 19.0.0git (https://github.com/RadeonOpenCompute/llvm-project roc-6.4.0 25133 c7fe45cf4b819c5991fe208aaa96edf142730f1d)"
	.section	".note.GNU-stack","",@progbits
	.addrsig
	.addrsig_sym __hip_cuid_976ec03b5226a98f
	.amdgpu_metadata
---
amdhsa.kernels:
  - .agpr_count:     0
    .args:
      - .address_space:  global
        .offset:         0
        .size:           8
        .value_kind:     global_buffer
      - .address_space:  global
        .offset:         8
        .size:           8
        .value_kind:     global_buffer
      - .address_space:  global
        .offset:         16
        .size:           8
        .value_kind:     global_buffer
      - .address_space:  global
        .offset:         24
        .size:           8
        .value_kind:     global_buffer
      - .address_space:  global
        .offset:         32
        .size:           8
        .value_kind:     global_buffer
      - .address_space:  global
        .offset:         40
        .size:           8
        .value_kind:     global_buffer
      - .address_space:  global
        .offset:         48
        .size:           8
        .value_kind:     global_buffer
      - .offset:         56
        .size:           8
        .value_kind:     by_value
      - .address_space:  global
        .offset:         64
        .size:           8
        .value_kind:     global_buffer
    .group_segment_fixed_size: 15872
    .kernarg_segment_align: 8
    .kernarg_segment_size: 72
    .language:       OpenCL C
    .language_version:
      - 2
      - 0
    .max_flat_workgroup_size: 64
    .name:           _ZN8rajaperf4apps17intsc_hexrect_hipILm64EEEvPdS2_S2_PiPcS3_S3_lS2_
    .private_segment_fixed_size: 448
    .sgpr_count:     36
    .sgpr_spill_count: 0
    .symbol:         _ZN8rajaperf4apps17intsc_hexrect_hipILm64EEEvPdS2_S2_PiPcS3_S3_lS2_.kd
    .uniform_work_group_size: 1
    .uses_dynamic_stack: false
    .vgpr_count:     125
    .vgpr_spill_count: 0
    .wavefront_size: 64
  - .agpr_count:     0
    .args:
      - .offset:         0
        .size:           8
        .value_kind:     by_value
      - .offset:         8
        .size:           8
        .value_kind:     by_value
      - .offset:         16
        .size:           72
        .value_kind:     by_value
    .group_segment_fixed_size: 15872
    .kernarg_segment_align: 8
    .kernarg_segment_size: 88
    .language:       OpenCL C
    .language_version:
      - 2
      - 0
    .max_flat_workgroup_size: 64
    .name:           _ZN8rajaperf17lambda_hip_forallILm64EZNS_4apps13INTSC_HEXRECT17runHipVariantImplILm64EEEvNS_9VariantIDEEUllE_EEvllT0_
    .private_segment_fixed_size: 448
    .sgpr_count:     58
    .sgpr_spill_count: 0
    .symbol:         _ZN8rajaperf17lambda_hip_forallILm64EZNS_4apps13INTSC_HEXRECT17runHipVariantImplILm64EEEvNS_9VariantIDEEUllE_EEvllT0_.kd
    .uniform_work_group_size: 1
    .uses_dynamic_stack: false
    .vgpr_count:     125
    .vgpr_spill_count: 0
    .wavefront_size: 64
  - .agpr_count:     0
    .args:
      - .offset:         0
        .size:           72
        .value_kind:     by_value
      - .offset:         72
        .size:           8
        .value_kind:     by_value
      - .offset:         80
        .size:           8
        .value_kind:     by_value
      - .offset:         88
        .size:           1
        .value_kind:     by_value
    .group_segment_fixed_size: 15872
    .kernarg_segment_align: 8
    .kernarg_segment_size: 92
    .language:       OpenCL C
    .language_version:
      - 2
      - 0
    .max_flat_workgroup_size: 64
    .name:           _ZN4RAJA6policy3hip4impl18forallp_hip_kernelINS1_8hip_execINS_17iteration_mapping6DirectENS_3hip11IndexGlobalILNS_9named_dimE0ELi64ELi0EEENS7_40AvoidDeviceMaxThreadOccupancyConcretizerINS7_34FractionOffsetOccupancyConcretizerINS_8FractionImLm1ELm1EEELln1EEEEELb1EEENS_9Iterators16numeric_iteratorIllPlEEZN8rajaperf4apps13INTSC_HEXRECT17runHipVariantImplILm64EEEvNSM_9VariantIDEEUllE0_lNS_4expt15ForallParamPackIJEEES6_SA_TnNSt9enable_ifIXaasr3std10is_base_ofINS5_10DirectBaseET4_EE5valuegtsrT5_10block_sizeLi0EEmE4typeELm64EEEvT1_T0_T2_T3_
    .private_segment_fixed_size: 448
    .sgpr_count:     58
    .sgpr_spill_count: 0
    .symbol:         _ZN4RAJA6policy3hip4impl18forallp_hip_kernelINS1_8hip_execINS_17iteration_mapping6DirectENS_3hip11IndexGlobalILNS_9named_dimE0ELi64ELi0EEENS7_40AvoidDeviceMaxThreadOccupancyConcretizerINS7_34FractionOffsetOccupancyConcretizerINS_8FractionImLm1ELm1EEELln1EEEEELb1EEENS_9Iterators16numeric_iteratorIllPlEEZN8rajaperf4apps13INTSC_HEXRECT17runHipVariantImplILm64EEEvNSM_9VariantIDEEUllE0_lNS_4expt15ForallParamPackIJEEES6_SA_TnNSt9enable_ifIXaasr3std10is_base_ofINS5_10DirectBaseET4_EE5valuegtsrT5_10block_sizeLi0EEmE4typeELm64EEEvT1_T0_T2_T3_.kd
    .uniform_work_group_size: 1
    .uses_dynamic_stack: false
    .vgpr_count:     124
    .vgpr_spill_count: 0
    .wavefront_size: 64
amdhsa.target:   amdgcn-amd-amdhsa--gfx90a
amdhsa.version:
  - 1
  - 2
...

	.end_amdgpu_metadata
